;; amdgpu-corpus repo=ROCm/rocFFT kind=compiled arch=gfx950 opt=O3
	.text
	.amdgcn_target "amdgcn-amd-amdhsa--gfx950"
	.amdhsa_code_object_version 6
	.protected	fft_rtc_fwd_len1176_factors_2_2_2_3_7_7_wgs_56_tpt_56_halfLds_half_op_CI_CI_sbrr_dirReg ; -- Begin function fft_rtc_fwd_len1176_factors_2_2_2_3_7_7_wgs_56_tpt_56_halfLds_half_op_CI_CI_sbrr_dirReg
	.globl	fft_rtc_fwd_len1176_factors_2_2_2_3_7_7_wgs_56_tpt_56_halfLds_half_op_CI_CI_sbrr_dirReg
	.p2align	8
	.type	fft_rtc_fwd_len1176_factors_2_2_2_3_7_7_wgs_56_tpt_56_halfLds_half_op_CI_CI_sbrr_dirReg,@function
fft_rtc_fwd_len1176_factors_2_2_2_3_7_7_wgs_56_tpt_56_halfLds_half_op_CI_CI_sbrr_dirReg: ; @fft_rtc_fwd_len1176_factors_2_2_2_3_7_7_wgs_56_tpt_56_halfLds_half_op_CI_CI_sbrr_dirReg
; %bb.0:
	s_load_dwordx4 s[12:15], s[0:1], 0x18
	s_load_dwordx4 s[8:11], s[0:1], 0x0
	;; [unrolled: 1-line block ×3, first 2 shown]
	v_mul_u32_u24_e32 v1, 0x493, v0
	v_add_u32_sdwa v10, s2, v1 dst_sel:DWORD dst_unused:UNUSED_PAD src0_sel:DWORD src1_sel:WORD_1
	s_waitcnt lgkmcnt(0)
	s_load_dwordx2 s[18:19], s[12:13], 0x0
	s_load_dwordx2 s[16:17], s[14:15], 0x0
	v_mov_b32_e32 v8, 0
	v_cmp_lt_u64_e64 s[2:3], s[10:11], 2
	v_mov_b32_e32 v11, v8
	s_and_b64 vcc, exec, s[2:3]
	v_mov_b64_e32 v[2:3], 0
	s_cbranch_vccnz .LBB0_8
; %bb.1:
	s_load_dwordx2 s[2:3], s[0:1], 0x10
	s_add_u32 s20, s14, 8
	s_addc_u32 s21, s15, 0
	s_add_u32 s22, s12, 8
	s_addc_u32 s23, s13, 0
	s_waitcnt lgkmcnt(0)
	s_add_u32 s24, s2, 8
	v_mov_b64_e32 v[2:3], 0
	s_addc_u32 s25, s3, 0
	s_mov_b64 s[26:27], 1
	v_mov_b64_e32 v[4:5], v[2:3]
.LBB0_2:                                ; =>This Inner Loop Header: Depth=1
	s_load_dwordx2 s[28:29], s[24:25], 0x0
                                        ; implicit-def: $vgpr6_vgpr7
	s_waitcnt lgkmcnt(0)
	v_or_b32_e32 v9, s29, v11
	v_cmp_ne_u64_e32 vcc, 0, v[8:9]
	s_and_saveexec_b64 s[2:3], vcc
	s_xor_b64 s[30:31], exec, s[2:3]
	s_cbranch_execz .LBB0_4
; %bb.3:                                ;   in Loop: Header=BB0_2 Depth=1
	v_cvt_f32_u32_e32 v1, s28
	v_cvt_f32_u32_e32 v6, s29
	s_sub_u32 s2, 0, s28
	s_subb_u32 s3, 0, s29
	v_fmac_f32_e32 v1, 0x4f800000, v6
	v_rcp_f32_e32 v1, v1
	s_nop 0
	v_mul_f32_e32 v1, 0x5f7ffffc, v1
	v_mul_f32_e32 v6, 0x2f800000, v1
	v_trunc_f32_e32 v6, v6
	v_fmac_f32_e32 v1, 0xcf800000, v6
	v_cvt_u32_f32_e32 v9, v6
	v_cvt_u32_f32_e32 v1, v1
	v_mul_lo_u32 v6, s2, v9
	v_mul_hi_u32 v12, s2, v1
	v_mul_lo_u32 v7, s3, v1
	v_add_u32_e32 v12, v12, v6
	v_mul_lo_u32 v14, s2, v1
	v_add_u32_e32 v15, v12, v7
	v_mul_hi_u32 v6, v1, v14
	v_mul_hi_u32 v13, v1, v15
	v_mul_lo_u32 v12, v1, v15
	v_mov_b32_e32 v7, v8
	v_lshl_add_u64 v[6:7], v[6:7], 0, v[12:13]
	v_mul_hi_u32 v13, v9, v14
	v_mul_lo_u32 v14, v9, v14
	v_add_co_u32_e32 v6, vcc, v6, v14
	v_mul_hi_u32 v12, v9, v15
	s_nop 0
	v_addc_co_u32_e32 v6, vcc, v7, v13, vcc
	v_mov_b32_e32 v7, v8
	s_nop 0
	v_addc_co_u32_e32 v13, vcc, 0, v12, vcc
	v_mul_lo_u32 v12, v9, v15
	v_lshl_add_u64 v[6:7], v[6:7], 0, v[12:13]
	v_add_co_u32_e32 v1, vcc, v1, v6
	v_mul_lo_u32 v12, s2, v1
	s_nop 0
	v_addc_co_u32_e32 v9, vcc, v9, v7, vcc
	v_mul_lo_u32 v6, s2, v9
	v_mul_hi_u32 v7, s2, v1
	v_add_u32_e32 v6, v7, v6
	v_mul_lo_u32 v7, s3, v1
	v_add_u32_e32 v14, v6, v7
	v_mul_hi_u32 v16, v9, v12
	v_mul_lo_u32 v17, v9, v12
	v_mul_hi_u32 v7, v1, v14
	v_mul_lo_u32 v6, v1, v14
	v_mul_hi_u32 v12, v1, v12
	v_mov_b32_e32 v13, v8
	v_lshl_add_u64 v[6:7], v[12:13], 0, v[6:7]
	v_add_co_u32_e32 v6, vcc, v6, v17
	v_mul_hi_u32 v15, v9, v14
	s_nop 0
	v_addc_co_u32_e32 v6, vcc, v7, v16, vcc
	v_mul_lo_u32 v12, v9, v14
	s_nop 0
	v_addc_co_u32_e32 v13, vcc, 0, v15, vcc
	v_mov_b32_e32 v7, v8
	v_lshl_add_u64 v[6:7], v[6:7], 0, v[12:13]
	v_add_co_u32_e32 v1, vcc, v1, v6
	v_mul_hi_u32 v12, v10, v1
	s_nop 0
	v_addc_co_u32_e32 v9, vcc, v9, v7, vcc
	v_mad_u64_u32 v[6:7], s[2:3], v10, v9, 0
	v_mov_b32_e32 v13, v8
	v_lshl_add_u64 v[6:7], v[12:13], 0, v[6:7]
	v_mad_u64_u32 v[14:15], s[2:3], v11, v1, 0
	v_add_co_u32_e32 v1, vcc, v6, v14
	v_mad_u64_u32 v[12:13], s[2:3], v11, v9, 0
	s_nop 0
	v_addc_co_u32_e32 v6, vcc, v7, v15, vcc
	v_mov_b32_e32 v7, v8
	s_nop 0
	v_addc_co_u32_e32 v13, vcc, 0, v13, vcc
	v_lshl_add_u64 v[6:7], v[6:7], 0, v[12:13]
	v_mul_lo_u32 v1, s29, v6
	v_mul_lo_u32 v9, s28, v7
	v_mad_u64_u32 v[12:13], s[2:3], s28, v6, 0
	v_add3_u32 v1, v13, v9, v1
	v_sub_u32_e32 v9, v11, v1
	v_mov_b32_e32 v13, s29
	v_sub_co_u32_e32 v16, vcc, v10, v12
	v_lshl_add_u64 v[14:15], v[6:7], 0, 1
	s_nop 0
	v_subb_co_u32_e64 v9, s[2:3], v9, v13, vcc
	v_subrev_co_u32_e64 v12, s[2:3], s28, v16
	v_subb_co_u32_e32 v1, vcc, v11, v1, vcc
	s_nop 0
	v_subbrev_co_u32_e64 v9, s[2:3], 0, v9, s[2:3]
	v_cmp_le_u32_e64 s[2:3], s29, v9
	v_cmp_le_u32_e32 vcc, s29, v1
	s_nop 0
	v_cndmask_b32_e64 v13, 0, -1, s[2:3]
	v_cmp_le_u32_e64 s[2:3], s28, v12
	s_nop 1
	v_cndmask_b32_e64 v12, 0, -1, s[2:3]
	v_cmp_eq_u32_e64 s[2:3], s29, v9
	s_nop 1
	v_cndmask_b32_e64 v9, v13, v12, s[2:3]
	v_lshl_add_u64 v[12:13], v[6:7], 0, 2
	v_cmp_ne_u32_e64 s[2:3], 0, v9
	s_nop 1
	v_cndmask_b32_e64 v9, v15, v13, s[2:3]
	v_cndmask_b32_e64 v13, 0, -1, vcc
	v_cmp_le_u32_e32 vcc, s28, v16
	s_nop 1
	v_cndmask_b32_e64 v15, 0, -1, vcc
	v_cmp_eq_u32_e32 vcc, s29, v1
	s_nop 1
	v_cndmask_b32_e32 v1, v13, v15, vcc
	v_cmp_ne_u32_e32 vcc, 0, v1
	v_cndmask_b32_e64 v1, v14, v12, s[2:3]
	s_nop 0
	v_cndmask_b32_e32 v7, v7, v9, vcc
	v_cndmask_b32_e32 v6, v6, v1, vcc
.LBB0_4:                                ;   in Loop: Header=BB0_2 Depth=1
	s_andn2_saveexec_b64 s[2:3], s[30:31]
	s_cbranch_execz .LBB0_6
; %bb.5:                                ;   in Loop: Header=BB0_2 Depth=1
	v_cvt_f32_u32_e32 v1, s28
	s_sub_i32 s30, 0, s28
	v_rcp_iflag_f32_e32 v1, v1
	s_nop 0
	v_mul_f32_e32 v1, 0x4f7ffffe, v1
	v_cvt_u32_f32_e32 v1, v1
	v_mul_lo_u32 v6, s30, v1
	v_mul_hi_u32 v6, v1, v6
	v_add_u32_e32 v1, v1, v6
	v_mul_hi_u32 v1, v10, v1
	v_mul_lo_u32 v6, v1, s28
	v_sub_u32_e32 v6, v10, v6
	v_add_u32_e32 v7, 1, v1
	v_subrev_u32_e32 v9, s28, v6
	v_cmp_le_u32_e32 vcc, s28, v6
	s_nop 1
	v_cndmask_b32_e32 v6, v6, v9, vcc
	v_cndmask_b32_e32 v1, v1, v7, vcc
	v_add_u32_e32 v7, 1, v1
	v_cmp_le_u32_e32 vcc, s28, v6
	s_nop 1
	v_cndmask_b32_e32 v6, v1, v7, vcc
	v_mov_b32_e32 v7, v8
.LBB0_6:                                ;   in Loop: Header=BB0_2 Depth=1
	s_or_b64 exec, exec, s[2:3]
	v_mad_u64_u32 v[12:13], s[2:3], v6, s28, 0
	s_load_dwordx2 s[2:3], s[22:23], 0x0
	v_mul_lo_u32 v1, v7, s28
	v_mul_lo_u32 v9, v6, s29
	s_load_dwordx2 s[28:29], s[20:21], 0x0
	s_add_u32 s26, s26, 1
	v_add3_u32 v1, v13, v9, v1
	v_sub_co_u32_e32 v9, vcc, v10, v12
	s_addc_u32 s27, s27, 0
	s_nop 0
	v_subb_co_u32_e32 v1, vcc, v11, v1, vcc
	s_add_u32 s20, s20, 8
	s_waitcnt lgkmcnt(0)
	v_mul_lo_u32 v10, s2, v1
	v_mul_lo_u32 v11, s3, v9
	v_mad_u64_u32 v[2:3], s[2:3], s2, v9, v[2:3]
	s_addc_u32 s21, s21, 0
	v_add3_u32 v3, v11, v3, v10
	v_mul_lo_u32 v1, s28, v1
	v_mul_lo_u32 v10, s29, v9
	v_mad_u64_u32 v[4:5], s[2:3], s28, v9, v[4:5]
	s_add_u32 s22, s22, 8
	v_add3_u32 v5, v10, v5, v1
	s_addc_u32 s23, s23, 0
	v_mov_b64_e32 v[10:11], s[10:11]
	s_add_u32 s24, s24, 8
	v_cmp_ge_u64_e32 vcc, s[26:27], v[10:11]
	s_addc_u32 s25, s25, 0
	s_cbranch_vccnz .LBB0_9
; %bb.7:                                ;   in Loop: Header=BB0_2 Depth=1
	v_mov_b64_e32 v[10:11], v[6:7]
	s_branch .LBB0_2
.LBB0_8:
	v_mov_b64_e32 v[4:5], v[2:3]
	v_mov_b64_e32 v[6:7], v[10:11]
.LBB0_9:
	s_load_dwordx2 s[0:1], s[0:1], 0x28
	s_lshl_b64 s[20:21], s[10:11], 3
	s_add_u32 s2, s14, s20
	s_addc_u32 s3, s15, s21
                                        ; implicit-def: $sgpr14
                                        ; implicit-def: $vgpr12
                                        ; implicit-def: $vgpr13
                                        ; implicit-def: $vgpr8
                                        ; implicit-def: $vgpr9
                                        ; implicit-def: $vgpr10
                                        ; implicit-def: $vgpr11
                                        ; implicit-def: $vgpr20
                                        ; implicit-def: $vgpr14
                                        ; implicit-def: $vgpr15
                                        ; implicit-def: $vgpr18
	s_waitcnt lgkmcnt(0)
	v_cmp_gt_u64_e32 vcc, s[0:1], v[6:7]
	v_cmp_le_u64_e64 s[0:1], s[0:1], v[6:7]
	s_and_saveexec_b64 s[10:11], s[0:1]
	s_xor_b64 s[0:1], exec, s[10:11]
	s_cbranch_execz .LBB0_11
; %bb.10:
	s_mov_b32 s10, 0x4924925
	v_mul_hi_u32 v1, v0, s10
	v_mul_u32_u24_e32 v1, 56, v1
	v_sub_u32_e32 v12, v0, v1
	v_add_u32_e32 v13, 56, v12
	v_add_u32_e32 v8, 0x70, v12
	;; [unrolled: 1-line block ×7, first 2 shown]
	v_or_b32_e32 v15, 0x1c0, v12
	v_add_u32_e32 v18, 0x1f8, v12
	s_mov_b32 s14, 0
                                        ; implicit-def: $vgpr0
                                        ; implicit-def: $vgpr2_vgpr3
.LBB0_11:
	s_or_saveexec_b64 s[10:11], s[0:1]
	s_load_dwordx2 s[2:3], s[2:3], 0x0
	v_mov_b32_e32 v16, s14
	v_mov_b32_e32 v42, s14
                                        ; implicit-def: $vgpr1
                                        ; implicit-def: $vgpr17
                                        ; implicit-def: $vgpr28
                                        ; implicit-def: $vgpr19
                                        ; implicit-def: $vgpr31
                                        ; implicit-def: $vgpr21
                                        ; implicit-def: $vgpr43
                                        ; implicit-def: $vgpr22
                                        ; implicit-def: $vgpr45
                                        ; implicit-def: $vgpr23
                                        ; implicit-def: $vgpr46
                                        ; implicit-def: $vgpr24
                                        ; implicit-def: $vgpr47
                                        ; implicit-def: $vgpr25
                                        ; implicit-def: $vgpr48
                                        ; implicit-def: $vgpr26
                                        ; implicit-def: $vgpr49
                                        ; implicit-def: $vgpr27
                                        ; implicit-def: $vgpr50
                                        ; implicit-def: $vgpr29
                                        ; implicit-def: $vgpr51
                                        ; implicit-def: $vgpr30
                                        ; implicit-def: $vgpr52
                                        ; implicit-def: $vgpr33
                                        ; implicit-def: $vgpr57
                                        ; implicit-def: $vgpr34
                                        ; implicit-def: $vgpr58
                                        ; implicit-def: $vgpr35
                                        ; implicit-def: $vgpr59
                                        ; implicit-def: $vgpr36
                                        ; implicit-def: $vgpr61
                                        ; implicit-def: $vgpr37
                                        ; implicit-def: $vgpr62
                                        ; implicit-def: $vgpr38
                                        ; implicit-def: $vgpr63
                                        ; implicit-def: $vgpr39
                                        ; implicit-def: $vgpr64
                                        ; implicit-def: $vgpr40
                                        ; implicit-def: $vgpr67
                                        ; implicit-def: $vgpr41
                                        ; implicit-def: $vgpr32
                                        ; implicit-def: $vgpr44
	s_xor_b64 exec, exec, s[10:11]
	s_cbranch_execz .LBB0_15
; %bb.12:
	s_add_u32 s0, s12, s20
	s_addc_u32 s1, s13, s21
	s_load_dwordx2 s[0:1], s[0:1], 0x0
	s_mov_b32 s12, 0x4924925
	s_waitcnt lgkmcnt(0)
	v_mul_lo_u32 v1, s1, v6
	v_mul_lo_u32 v10, s0, v7
	v_mad_u64_u32 v[8:9], s[0:1], s0, v6, 0
	v_add3_u32 v9, v9, v10, v1
	v_mul_hi_u32 v1, v0, s12
	v_mul_u32_u24_e32 v1, 56, v1
	v_sub_u32_e32 v12, v0, v1
	v_mad_u64_u32 v[10:11], s[0:1], s18, v12, 0
	v_mov_b32_e32 v0, v11
	v_mad_u64_u32 v[0:1], s[0:1], s19, v12, v[0:1]
	v_mov_b32_e32 v11, v0
	v_lshl_add_u64 v[0:1], v[8:9], 2, s[4:5]
	v_lshl_add_u64 v[0:1], v[2:3], 2, v[0:1]
	v_lshl_add_u64 v[2:3], v[10:11], 2, v[0:1]
	v_add_u32_e32 v11, 0x24c, v12
	v_mad_u64_u32 v[8:9], s[0:1], s18, v11, 0
	v_mov_b32_e32 v10, v9
	v_mad_u64_u32 v[10:11], s[0:1], s19, v11, v[10:11]
	v_mov_b32_e32 v9, v10
	v_add_u32_e32 v13, 56, v12
	v_lshl_add_u64 v[10:11], v[8:9], 2, v[0:1]
	v_mad_u64_u32 v[8:9], s[0:1], s18, v13, 0
	v_mov_b32_e32 v14, v9
	v_mad_u64_u32 v[14:15], s[0:1], s19, v13, v[14:15]
	v_mov_b32_e32 v9, v14
	v_add_u32_e32 v17, 0x284, v12
	v_lshl_add_u64 v[14:15], v[8:9], 2, v[0:1]
	v_mad_u64_u32 v[8:9], s[0:1], s18, v17, 0
	v_mov_b32_e32 v16, v9
	v_mad_u64_u32 v[16:17], s[0:1], s19, v17, v[16:17]
	v_mov_b32_e32 v9, v16
	v_lshl_add_u64 v[28:29], v[8:9], 2, v[0:1]
	v_add_u32_e32 v8, 0x70, v12
	v_mad_u64_u32 v[16:17], s[0:1], s18, v8, 0
	v_mov_b32_e32 v18, v17
	v_mad_u64_u32 v[18:19], s[0:1], s19, v8, v[18:19]
	v_mov_b32_e32 v17, v18
	v_add_u32_e32 v9, 0x2bc, v12
	v_lshl_add_u64 v[30:31], v[16:17], 2, v[0:1]
	v_mad_u64_u32 v[16:17], s[0:1], s18, v9, 0
	v_mov_b32_e32 v18, v17
	v_mad_u64_u32 v[18:19], s[0:1], s19, v9, v[18:19]
	v_mov_b32_e32 v17, v18
	v_add_u32_e32 v9, 0xa8, v12
	v_lshl_add_u64 v[32:33], v[16:17], 2, v[0:1]
	;; [unrolled: 6-line block ×3, first 2 shown]
	v_mad_u64_u32 v[16:17], s[0:1], s18, v19, 0
	v_mov_b32_e32 v18, v17
	v_mad_u64_u32 v[18:19], s[0:1], s19, v19, v[18:19]
	v_mov_b32_e32 v17, v18
	v_lshl_add_u64 v[36:37], v[16:17], 2, v[0:1]
	global_load_dword v17, v[2:3], off
	global_load_dword v19, v[10:11], off
	;; [unrolled: 1-line block ×8, first 2 shown]
	v_add_u32_e32 v10, 0xe0, v12
	v_mad_u64_u32 v[2:3], s[0:1], s18, v10, 0
	v_mov_b32_e32 v14, v3
	v_mad_u64_u32 v[14:15], s[0:1], s19, v10, v[14:15]
	v_add_u32_e32 v11, 0x32c, v12
	v_mov_b32_e32 v3, v14
	v_mad_u64_u32 v[14:15], s[0:1], s18, v11, 0
	v_mov_b32_e32 v16, v15
	v_add_u32_e32 v18, 0x364, v12
	v_add_u32_e32 v20, 0x150, v12
	v_lshl_add_u64 v[2:3], v[2:3], 2, v[0:1]
                                        ; implicit-def: $vgpr32
	s_waitcnt vmcnt(7)
	v_mad_u64_u32 v[28:29], s[0:1], s19, v11, v[16:17]
	v_mov_b32_e32 v15, v28
	v_add_u32_e32 v11, 0x118, v12
	v_lshl_add_u64 v[38:39], v[14:15], 2, v[0:1]
	v_mad_u64_u32 v[14:15], s[0:1], s18, v11, 0
	v_mov_b32_e32 v16, v15
	v_mad_u64_u32 v[28:29], s[0:1], s19, v11, v[16:17]
	v_mov_b32_e32 v15, v28
	v_lshl_add_u64 v[40:41], v[14:15], 2, v[0:1]
	v_mad_u64_u32 v[14:15], s[0:1], s18, v18, 0
	v_mov_b32_e32 v16, v15
	v_mad_u64_u32 v[28:29], s[0:1], s19, v18, v[16:17]
	v_mov_b32_e32 v15, v28
	;; [unrolled: 5-line block ×3, first 2 shown]
	v_add_u32_e32 v18, 0x39c, v12
	v_lshl_add_u64 v[44:45], v[14:15], 2, v[0:1]
	v_mad_u64_u32 v[14:15], s[0:1], s18, v18, 0
	v_mov_b32_e32 v16, v15
	v_mad_u64_u32 v[28:29], s[0:1], s19, v18, v[16:17]
	v_mov_b32_e32 v15, v28
	v_lshl_add_u64 v[46:47], v[14:15], 2, v[0:1]
	v_add_u32_e32 v14, 0x188, v12
	v_mad_u64_u32 v[28:29], s[0:1], s18, v14, 0
	v_mov_b32_e32 v16, v29
	v_mad_u64_u32 v[30:31], s[0:1], s19, v14, v[16:17]
	v_mov_b32_e32 v29, v30
	v_add_u32_e32 v15, 0x3d4, v12
	v_lshl_add_u64 v[48:49], v[28:29], 2, v[0:1]
	v_mad_u64_u32 v[28:29], s[0:1], s18, v15, 0
	v_mov_b32_e32 v16, v29
	v_mad_u64_u32 v[30:31], s[0:1], s19, v15, v[16:17]
	v_mov_b32_e32 v29, v30
	v_or_b32_e32 v15, 0x1c0, v12
	v_lshl_add_u64 v[50:51], v[28:29], 2, v[0:1]
	global_load_dword v27, v[2:3], off
	global_load_dword v29, v[38:39], off
	;; [unrolled: 1-line block ×8, first 2 shown]
	v_mad_u64_u32 v[2:3], s[0:1], s18, v15, 0
	v_mov_b32_e32 v16, v3
	v_mad_u64_u32 v[38:39], s[0:1], s19, v15, v[16:17]
	v_add_u32_e32 v18, 0x40c, v12
	v_mov_b32_e32 v3, v38
	v_mad_u64_u32 v[38:39], s[0:1], s18, v18, 0
	v_mov_b32_e32 v16, v39
	v_mad_u64_u32 v[40:41], s[0:1], s19, v18, v[16:17]
	v_mov_b32_e32 v39, v40
	v_add_u32_e32 v18, 0x1f8, v12
	v_lshl_add_u64 v[42:43], v[38:39], 2, v[0:1]
	v_mad_u64_u32 v[38:39], s[0:1], s18, v18, 0
	v_mov_b32_e32 v16, v39
	v_mad_u64_u32 v[40:41], s[0:1], s19, v18, v[16:17]
	v_mov_b32_e32 v39, v40
	v_add_u32_e32 v28, 0x444, v12
	v_lshl_add_u64 v[44:45], v[38:39], 2, v[0:1]
	v_mad_u64_u32 v[38:39], s[0:1], s18, v28, 0
	v_mov_b32_e32 v16, v39
	v_mad_u64_u32 v[40:41], s[0:1], s19, v28, v[16:17]
	v_lshl_add_u64 v[2:3], v[2:3], 2, v[0:1]
	v_mov_b32_e32 v39, v40
	v_lshl_add_u64 v[46:47], v[38:39], 2, v[0:1]
	global_load_dword v38, v[2:3], off
	global_load_dword v39, v[42:43], off
	;; [unrolled: 1-line block ×4, first 2 shown]
	v_cmp_gt_u32_e64 s[0:1], 28, v12
	v_mov_b32_e32 v42, 0
	v_mov_b32_e32 v16, 0
                                        ; implicit-def: $vgpr44
	s_and_saveexec_b64 s[4:5], s[0:1]
	s_cbranch_execz .LBB0_14
; %bb.13:
	v_add_u32_e32 v28, 0x230, v12
	v_mad_u64_u32 v[2:3], s[0:1], s18, v28, 0
	v_mov_b32_e32 v16, v3
	v_mad_u64_u32 v[42:43], s[0:1], s19, v28, v[16:17]
	v_add_u32_e32 v28, 0x47c, v12
	v_mov_b32_e32 v3, v42
	v_mad_u64_u32 v[42:43], s[0:1], s18, v28, 0
	v_mov_b32_e32 v16, v43
	v_mad_u64_u32 v[44:45], s[0:1], s19, v28, v[16:17]
	v_lshl_add_u64 v[2:3], v[2:3], 2, v[0:1]
	v_mov_b32_e32 v43, v44
	v_lshl_add_u64 v[0:1], v[42:43], 2, v[0:1]
	global_load_dword v42, v[2:3], off
	global_load_dword v44, v[0:1], off
	s_waitcnt vmcnt(1)
	v_lshrrev_b32_e32 v16, 16, v42
	s_waitcnt vmcnt(0)
	v_lshrrev_b32_e32 v32, 16, v44
.LBB0_14:
	s_or_b64 exec, exec, s[4:5]
	v_lshrrev_b32_e32 v1, 16, v17
	s_waitcnt vmcnt(18)
	v_lshrrev_b32_e32 v28, 16, v19
	s_waitcnt vmcnt(17)
	;; [unrolled: 2-line block ×19, first 2 shown]
	v_lshrrev_b32_e32 v67, 16, v41
.LBB0_15:
	s_or_b64 exec, exec, s[10:11]
	v_sub_f16_e32 v0, v17, v19
	v_fma_f16 v2, v17, 2.0, -v0
	v_sub_f16_e32 v3, v21, v22
	v_fma_f16 v17, v21, 2.0, -v3
	v_sub_f16_e32 v19, v23, v24
	v_lshl_add_u32 v75, v12, 2, 0
	v_pack_b32_f16 v0, v2, v0
	v_fma_f16 v22, v23, 2.0, -v19
	v_sub_f16_e32 v23, v25, v26
	ds_write_b32 v75, v0
	v_lshl_add_u32 v76, v13, 2, 0
	v_pack_b32_f16 v0, v17, v3
	v_fma_f16 v24, v25, 2.0, -v23
	v_sub_f16_e32 v25, v27, v29
	ds_write_b32 v76, v0
	;; [unrolled: 5-line block ×8, first 2 shown]
	v_lshl_add_u32 v19, v15, 2, 0
	v_pack_b32_f16 v2, v38, v39
	v_add_u32_e32 v44, 0x230, v12
	v_fma_f16 v30, v42, 2.0, -v29
	v_lshlrev_b32_e32 v21, 1, v8
	v_lshlrev_b32_e32 v22, 1, v9
	v_lshlrev_b32_e32 v23, 1, v10
	v_lshlrev_b32_e32 v24, 1, v11
	v_lshlrev_b32_e32 v25, 1, v20
	v_lshlrev_b32_e32 v26, 1, v14
	v_lshlrev_b32_e32 v27, 1, v15
	ds_write_b32 v19, v2
	v_lshlrev_b32_e32 v2, 1, v18
	v_lshl_add_u32 v68, v18, 2, 0
	v_pack_b32_f16 v14, v40, v41
	v_cmp_gt_u32_e64 s[0:1], 28, v12
	v_lshl_add_u32 v18, v44, 2, 0
	ds_write_b32 v68, v14
	s_and_saveexec_b64 s[4:5], s[0:1]
	s_cbranch_execz .LBB0_17
; %bb.16:
	s_mov_b32 s10, 0x5040100
	v_perm_b32 v14, v29, v30, s10
	ds_write_b32 v18, v14
.LBB0_17:
	s_or_b64 exec, exec, s[4:5]
	v_lshl_add_u32 v14, v12, 1, 0
	v_sub_u32_e32 v33, v0, v21
	v_sub_u32_e32 v34, v17, v22
	;; [unrolled: 1-line block ×4, first 2 shown]
	s_waitcnt lgkmcnt(0)
	; wave barrier
	s_waitcnt lgkmcnt(0)
	ds_read_u16 v53, v33
	ds_read_u16 v54, v34
	;; [unrolled: 1-line block ×5, first 2 shown]
	ds_read_u16 v41, v14 offset:1176
	ds_read_u16 v40, v14 offset:1288
	ds_read_u16 v37, v14 offset:1400
	ds_read_u16 v36, v14 offset:1512
	ds_read_u16 v35, v14 offset:1624
	ds_read_u16 v33, v14 offset:1736
	ds_read_u16 v34, v14 offset:1848
	v_sub_u32_e32 v42, v69, v25
	v_sub_u32_e32 v66, v3, v26
	;; [unrolled: 1-line block ×4, first 2 shown]
	v_lshl_add_u32 v15, v13, 1, 0
	ds_read_u16 v38, v14 offset:1960
	ds_read_u16 v39, v14 offset:2072
	ds_read_u16 v65, v42
	ds_read_u16 v66, v66
	ds_read_u16 v70, v70
	ds_read_u16 v71, v71
	ds_read_u16 v72, v15
	ds_read_u16 v42, v14 offset:2184
	s_and_saveexec_b64 s[4:5], s[0:1]
	s_cbranch_execz .LBB0_19
; %bb.18:
	ds_read_u16 v30, v14 offset:1120
	ds_read_u16 v29, v14 offset:2296
.LBB0_19:
	s_or_b64 exec, exec, s[4:5]
	v_sub_f16_e32 v28, v1, v28
	v_fma_f16 v1, v1, 2.0, -v28
	v_sub_f16_e32 v43, v31, v43
	v_fma_f16 v31, v31, 2.0, -v43
	v_sub_f16_e32 v46, v45, v46
	v_pack_b32_f16 v1, v1, v28
	v_fma_f16 v85, v45, 2.0, -v46
	v_sub_f16_e32 v48, v47, v48
	s_waitcnt lgkmcnt(0)
	; wave barrier
	s_waitcnt lgkmcnt(0)
	ds_write_b32 v75, v1
	v_pack_b32_f16 v1, v31, v43
	v_fma_f16 v47, v47, 2.0, -v48
	v_sub_f16_e32 v86, v49, v50
	ds_write_b32 v76, v1
	v_pack_b32_f16 v1, v85, v46
	v_fma_f16 v49, v49, 2.0, -v86
	v_sub_f16_e32 v52, v51, v52
	;; [unrolled: 4-line block ×7, first 2 shown]
	ds_write_b32 v3, v1
	v_pack_b32_f16 v1, v62, v63
	v_sub_u32_e32 v82, 0, v21
	v_sub_u32_e32 v81, 0, v22
	v_sub_u32_e32 v80, 0, v23
	v_sub_u32_e32 v78, 0, v24
	v_sub_u32_e32 v77, 0, v25
	v_sub_u32_e32 v84, 0, v26
	v_sub_u32_e32 v83, 0, v27
	v_sub_u32_e32 v79, 0, v2
	v_fma_f16 v45, v16, 2.0, -v50
	ds_write_b32 v19, v1
	v_pack_b32_f16 v1, v64, v67
	ds_write_b32 v68, v1
	s_and_saveexec_b64 s[4:5], s[0:1]
	s_cbranch_execz .LBB0_21
; %bb.20:
	s_mov_b32 s10, 0x5040100
	v_perm_b32 v1, v50, v45, s10
	ds_write_b32 v18, v1
.LBB0_21:
	s_or_b64 exec, exec, s[4:5]
	v_add_u32_e32 v16, v0, v82
	s_waitcnt lgkmcnt(0)
	; wave barrier
	s_waitcnt lgkmcnt(0)
	v_add_u32_e32 v17, v17, v81
	v_add_u32_e32 v0, v73, v80
	;; [unrolled: 1-line block ×3, first 2 shown]
	ds_read_u16 v63, v16
	ds_read_u16 v61, v17
	;; [unrolled: 1-line block ×4, first 2 shown]
	v_add_u32_e32 v18, v69, v77
	ds_read_u16 v67, v14
	ds_read_u16 v86, v14 offset:1176
	ds_read_u16 v85, v14 offset:1288
	;; [unrolled: 1-line block ×7, first 2 shown]
	v_add_u32_e32 v3, v3, v84
	v_add_u32_e32 v46, v19, v83
	ds_read_u16 v83, v14 offset:1960
	ds_read_u16 v84, v14 offset:2072
	v_add_u32_e32 v19, v68, v79
	ds_read_u16 v75, v18
	ds_read_u16 v74, v3
	;; [unrolled: 1-line block ×5, first 2 shown]
	ds_read_u16 v87, v14 offset:2184
	v_lshlrev_b32_e32 v31, 1, v12
	v_lshlrev_b32_e32 v32, 1, v13
	s_and_saveexec_b64 s[4:5], s[0:1]
	s_cbranch_execz .LBB0_23
; %bb.22:
	ds_read_u16 v45, v14 offset:1120
	ds_read_u16 v50, v14 offset:2296
.LBB0_23:
	s_or_b64 exec, exec, s[4:5]
	v_and_b32_e32 v64, 1, v12
	v_lshlrev_b32_e32 v28, 2, v64
	global_load_dword v88, v28, s[8:9]
	s_movk_i32 s4, 0x7c
	s_movk_i32 s5, 0xfc
	;; [unrolled: 1-line block ×5, first 2 shown]
	v_and_or_b32 v28, v31, s4, v64
	v_and_or_b32 v43, v32, s5, v64
	;; [unrolled: 1-line block ×8, first 2 shown]
	v_lshl_add_u32 v96, v28, 1, 0
	v_lshl_add_u32 v95, v43, 1, 0
	;; [unrolled: 1-line block ×8, first 2 shown]
	s_movk_i32 s4, 0x7fc
	v_and_or_b32 v62, v27, s11, v64
	s_waitcnt lgkmcnt(0)
	; wave barrier
	s_waitcnt vmcnt(0) lgkmcnt(0)
	v_mul_f16_sdwa v28, v86, v88 dst_sel:DWORD dst_unused:UNUSED_PAD src0_sel:DWORD src1_sel:WORD_1
	v_mul_f16_sdwa v97, v50, v88 dst_sel:DWORD dst_unused:UNUSED_PAD src0_sel:DWORD src1_sel:WORD_1
	;; [unrolled: 1-line block ×11, first 2 shown]
	v_fma_f16 v28, v41, v88, -v28
	v_fma_f16 v97, v29, v88, -v97
	;; [unrolled: 1-line block ×11, first 2 shown]
	v_sub_f16_e32 v98, v60, v28
	v_sub_f16_e32 v28, v30, v97
	;; [unrolled: 1-line block ×11, first 2 shown]
	v_fma_f16 v43, v30, 2.0, -v28
	v_and_or_b32 v30, v2, s4, v64
	v_fma_f16 v60, v60, 2.0, -v98
	v_fma_f16 v72, v72, 2.0, -v99
	;; [unrolled: 1-line block ×10, first 2 shown]
	ds_write_b16 v96, v98 offset:4
	ds_write_b16 v96, v60
	ds_write_b16 v95, v72
	ds_write_b16 v95, v99 offset:4
	ds_write_b16 v94, v53
	ds_write_b16 v94, v47 offset:4
	;; [unrolled: 2-line block ×7, first 2 shown]
	v_lshl_add_u32 v97, v62, 1, 0
	v_lshl_add_u32 v98, v30, 1, 0
	v_lshlrev_b32_e32 v30, 1, v44
	ds_write_b16 v97, v70
	ds_write_b16 v97, v73 offset:4
	ds_write_b16 v98, v71
	ds_write_b16 v98, v76 offset:4
	s_and_saveexec_b64 s[4:5], s[0:1]
	s_cbranch_execz .LBB0_25
; %bb.24:
	s_movk_i32 s10, 0x4fc
	v_and_or_b32 v44, v30, s10, v64
	v_lshl_add_u32 v44, v44, 1, 0
	ds_write_b16 v44, v43
	ds_write_b16 v44, v28 offset:4
.LBB0_25:
	s_or_b64 exec, exec, s[4:5]
	s_waitcnt lgkmcnt(0)
	; wave barrier
	s_waitcnt lgkmcnt(0)
	ds_read_u16 v58, v16
	ds_read_u16 v60, v17
	;; [unrolled: 1-line block ×5, first 2 shown]
	ds_read_u16 v56, v14 offset:1176
	ds_read_u16 v54, v14 offset:1288
	;; [unrolled: 1-line block ×9, first 2 shown]
	ds_read_u16 v70, v18
	ds_read_u16 v71, v3
	;; [unrolled: 1-line block ×5, first 2 shown]
	ds_read_u16 v55, v14 offset:2184
	s_and_saveexec_b64 s[4:5], s[0:1]
	s_cbranch_execz .LBB0_27
; %bb.26:
	ds_read_u16 v43, v14 offset:1120
	ds_read_u16 v28, v14 offset:2296
.LBB0_27:
	s_or_b64 exec, exec, s[4:5]
	v_mul_f16_sdwa v41, v41, v88 dst_sel:DWORD dst_unused:UNUSED_PAD src0_sel:DWORD src1_sel:WORD_1
	v_mul_f16_sdwa v33, v33, v88 dst_sel:DWORD dst_unused:UNUSED_PAD src0_sel:DWORD src1_sel:WORD_1
	;; [unrolled: 1-line block ×3, first 2 shown]
	v_fma_f16 v41, v86, v88, v41
	v_mul_f16_sdwa v40, v40, v88 dst_sel:DWORD dst_unused:UNUSED_PAD src0_sel:DWORD src1_sel:WORD_1
	v_mul_f16_sdwa v37, v37, v88 dst_sel:DWORD dst_unused:UNUSED_PAD src0_sel:DWORD src1_sel:WORD_1
	;; [unrolled: 1-line block ×4, first 2 shown]
	v_fma_f16 v33, v77, v88, v33
	v_mul_f16_sdwa v34, v34, v88 dst_sel:DWORD dst_unused:UNUSED_PAD src0_sel:DWORD src1_sel:WORD_1
	v_mul_f16_sdwa v38, v38, v88 dst_sel:DWORD dst_unused:UNUSED_PAD src0_sel:DWORD src1_sel:WORD_1
	;; [unrolled: 1-line block ×4, first 2 shown]
	v_fma_f16 v29, v50, v88, v29
	v_fma_f16 v40, v85, v88, v40
	;; [unrolled: 1-line block ×9, first 2 shown]
	v_sub_f16_e32 v41, v67, v41
	v_sub_f16_e32 v77, v57, v33
	v_sub_f16_e32 v33, v45, v29
	v_fma_f16 v50, v67, 2.0, -v41
	v_sub_f16_e32 v40, v79, v40
	v_sub_f16_e32 v37, v63, v37
	;; [unrolled: 1-line block ×8, first 2 shown]
	v_fma_f16 v29, v45, 2.0, -v33
	v_fma_f16 v67, v79, 2.0, -v40
	;; [unrolled: 1-line block ×10, first 2 shown]
	s_waitcnt lgkmcnt(0)
	; wave barrier
	s_waitcnt lgkmcnt(0)
	ds_write_b16 v96, v50
	ds_write_b16 v96, v41 offset:4
	ds_write_b16 v95, v67
	ds_write_b16 v95, v40 offset:4
	;; [unrolled: 2-line block ×10, first 2 shown]
	s_and_saveexec_b64 s[4:5], s[0:1]
	s_cbranch_execz .LBB0_29
; %bb.28:
	s_movk_i32 s10, 0x4fc
	v_and_or_b32 v34, v30, s10, v64
	v_lshl_add_u32 v34, v34, 1, 0
	ds_write_b16 v34, v29
	ds_write_b16 v34, v33 offset:4
.LBB0_29:
	s_or_b64 exec, exec, s[4:5]
	s_waitcnt lgkmcnt(0)
	; wave barrier
	s_waitcnt lgkmcnt(0)
	ds_read_u16 v36, v16
	ds_read_u16 v37, v17
	;; [unrolled: 1-line block ×5, first 2 shown]
	ds_read_u16 v75, v14 offset:1176
	ds_read_u16 v69, v14 offset:1288
	;; [unrolled: 1-line block ×9, first 2 shown]
	ds_read_u16 v50, v18
	ds_read_u16 v45, v3
	;; [unrolled: 1-line block ×5, first 2 shown]
	ds_read_u16 v74, v14 offset:2184
	s_and_saveexec_b64 s[4:5], s[0:1]
	s_cbranch_execz .LBB0_31
; %bb.30:
	ds_read_u16 v29, v14 offset:1120
	ds_read_u16 v33, v14 offset:2296
.LBB0_31:
	s_or_b64 exec, exec, s[4:5]
	v_and_b32_e32 v34, 3, v12
	v_lshlrev_b32_e32 v35, 2, v34
	global_load_dword v35, v35, s[8:9] offset:8
	s_movk_i32 s11, 0x3f8
	s_movk_i32 s4, 0x78
	;; [unrolled: 1-line block ×5, first 2 shown]
	v_and_or_b32 v23, v23, s11, v34
	v_and_or_b32 v31, v31, s4, v34
	;; [unrolled: 1-line block ×8, first 2 shown]
	v_lshl_add_u32 v79, v23, 1, 0
	v_lshl_add_u32 v83, v31, 1, 0
	;; [unrolled: 1-line block ×8, first 2 shown]
	s_movk_i32 s13, 0x7f8
	v_and_or_b32 v27, v27, s11, v34
	v_and_or_b32 v2, v2, s13, v34
	s_waitcnt lgkmcnt(0)
	; wave barrier
	s_waitcnt lgkmcnt(0)
	v_lshl_add_u32 v27, v27, 1, 0
	s_waitcnt vmcnt(0)
	v_mul_f16_sdwa v23, v68, v35 dst_sel:DWORD dst_unused:UNUSED_PAD src0_sel:DWORD src1_sel:WORD_1
	v_mul_f16_sdwa v21, v75, v35 dst_sel:DWORD dst_unused:UNUSED_PAD src0_sel:DWORD src1_sel:WORD_1
	;; [unrolled: 1-line block ×10, first 2 shown]
	v_fma_f16 v23, v53, v35, -v23
	v_fma_f16 v21, v56, v35, -v21
	;; [unrolled: 1-line block ×10, first 2 shown]
	v_sub_f16_e32 v23, v58, v23
	v_sub_f16_e32 v21, v66, v21
	;; [unrolled: 1-line block ×10, first 2 shown]
	v_fma_f16 v58, v58, 2.0, -v23
	v_fma_f16 v66, v66, 2.0, -v21
	v_fma_f16 v76, v76, 2.0, -v22
	v_fma_f16 v60, v60, 2.0, -v24
	v_fma_f16 v62, v62, 2.0, -v25
	v_fma_f16 v65, v65, 2.0, -v26
	v_fma_f16 v70, v70, 2.0, -v32
	v_fma_f16 v71, v71, 2.0, -v84
	v_fma_f16 v72, v72, 2.0, -v85
	v_fma_f16 v73, v73, 2.0, -v86
	ds_write_b16 v83, v21 offset:8
	ds_write_b16 v83, v66
	ds_write_b16 v82, v76
	ds_write_b16 v82, v22 offset:8
	ds_write_b16 v81, v58
	ds_write_b16 v81, v23 offset:8
	;; [unrolled: 2-line block ×8, first 2 shown]
	v_lshl_add_u32 v58, v2, 1, 0
	ds_write_b16 v58, v73
	ds_write_b16 v58, v86 offset:8
	s_and_saveexec_b64 s[4:5], s[0:1]
	s_cbranch_execz .LBB0_33
; %bb.32:
	v_mul_f16_sdwa v2, v33, v35 dst_sel:DWORD dst_unused:UNUSED_PAD src0_sel:DWORD src1_sel:WORD_1
	v_fma_f16 v2, v28, v35, -v2
	s_movk_i32 s10, 0x4f8
	v_sub_f16_e32 v2, v43, v2
	v_and_or_b32 v22, v30, s10, v34
	v_fma_f16 v21, v43, 2.0, -v2
	v_lshl_add_u32 v22, v22, 1, 0
	ds_write_b16 v22, v21
	ds_write_b16 v22, v2 offset:8
.LBB0_33:
	s_or_b64 exec, exec, s[4:5]
	v_mul_f16_sdwa v2, v56, v35 dst_sel:DWORD dst_unused:UNUSED_PAD src0_sel:DWORD src1_sel:WORD_1
	v_mul_f16_sdwa v21, v54, v35 dst_sel:DWORD dst_unused:UNUSED_PAD src0_sel:DWORD src1_sel:WORD_1
	;; [unrolled: 1-line block ×9, first 2 shown]
	v_fma_f16 v2, v75, v35, v2
	v_fma_f16 v21, v69, v35, v21
	;; [unrolled: 1-line block ×6, first 2 shown]
	v_mul_f16_sdwa v26, v47, v35 dst_sel:DWORD dst_unused:UNUSED_PAD src0_sel:DWORD src1_sel:WORD_1
	v_fma_f16 v32, v61, v35, v32
	v_fma_f16 v43, v63, v35, v43
	;; [unrolled: 1-line block ×4, first 2 shown]
	v_sub_f16_e32 v49, v42, v2
	v_sub_f16_e32 v52, v46, v21
	;; [unrolled: 1-line block ×9, first 2 shown]
	v_fma_f16 v51, v42, 2.0, -v49
	v_fma_f16 v53, v46, 2.0, -v52
	;; [unrolled: 1-line block ×6, first 2 shown]
	v_sub_f16_e32 v63, v50, v26
	v_fma_f16 v65, v45, 2.0, -v64
	v_fma_f16 v67, v41, 2.0, -v66
	;; [unrolled: 1-line block ×3, first 2 shown]
	s_waitcnt lgkmcnt(0)
	; wave barrier
	s_waitcnt lgkmcnt(0)
	ds_read_u16 v24, v16
	ds_read_u16 v23, v17
	;; [unrolled: 1-line block ×5, first 2 shown]
	ds_read_u16 v44, v14 offset:896
	ds_read_u16 v42, v14 offset:1008
	;; [unrolled: 1-line block ×10, first 2 shown]
	ds_read_u16 v47, v3
	ds_read_u16 v2, v18
	ds_read_u16 v48, v14 offset:1568
	ds_read_u16 v38, v14 offset:1456
	ds_read_u16 v25, v15
	ds_read_u16 v39, v14 offset:2240
	v_fma_f16 v50, v50, 2.0, -v63
	s_waitcnt lgkmcnt(0)
	; wave barrier
	s_waitcnt lgkmcnt(0)
	ds_write_b16 v83, v51
	ds_write_b16 v83, v49 offset:8
	ds_write_b16 v82, v53
	ds_write_b16 v82, v52 offset:8
	;; [unrolled: 2-line block ×10, first 2 shown]
	s_and_saveexec_b64 s[4:5], s[0:1]
	s_cbranch_execz .LBB0_35
; %bb.34:
	v_mul_f16_sdwa v27, v28, v35 dst_sel:DWORD dst_unused:UNUSED_PAD src0_sel:DWORD src1_sel:WORD_1
	v_fma_f16 v27, v33, v35, v27
	v_sub_f16_e32 v27, v29, v27
	s_movk_i32 s0, 0x4f8
	v_fma_f16 v28, v29, 2.0, -v27
	v_and_or_b32 v29, v30, s0, v34
	v_lshl_add_u32 v29, v29, 1, 0
	ds_write_b16 v29, v28
	ds_write_b16 v29, v27 offset:8
.LBB0_35:
	s_or_b64 exec, exec, s[4:5]
	v_and_b32_e32 v27, 7, v12
	v_lshlrev_b32_e32 v28, 3, v27
	s_waitcnt lgkmcnt(0)
	; wave barrier
	s_waitcnt lgkmcnt(0)
	global_load_dwordx2 v[28:29], v28, s[8:9] offset:24
	ds_read_u16 v30, v16
	ds_read_u16 v31, v17
	;; [unrolled: 1-line block ×5, first 2 shown]
	ds_read_u16 v34, v14 offset:896
	ds_read_u16 v35, v14 offset:1008
	;; [unrolled: 1-line block ×10, first 2 shown]
	ds_read_u16 v3, v3
	ds_read_u16 v57, v18
	ds_read_u16 v58, v14 offset:1568
	ds_read_u16 v59, v14 offset:1456
	ds_read_u16 v60, v15
	ds_read_u16 v61, v14 offset:2240
	s_movk_i32 s0, 0x3aee
	s_mov_b32 s1, 0xbaee
	s_waitcnt lgkmcnt(0)
	; wave barrier
	s_waitcnt lgkmcnt(0)
	v_lshrrev_b32_e32 v9, 3, v9
	v_lshrrev_b32_e32 v10, 3, v10
	;; [unrolled: 1-line block ×4, first 2 shown]
	v_mul_lo_u32 v9, v9, 24
	v_mul_lo_u32 v10, v10, 24
	;; [unrolled: 1-line block ×4, first 2 shown]
	v_or_b32_e32 v9, v9, v27
	v_or_b32_e32 v10, v10, v27
	;; [unrolled: 1-line block ×4, first 2 shown]
	v_lshl_add_u32 v9, v9, 1, 0
	v_lshl_add_u32 v10, v10, 1, 0
	;; [unrolled: 1-line block ×4, first 2 shown]
	s_movk_i32 s14, 0x2b26
	s_mov_b32 s12, 0xbcab
	s_mov_b32 s4, 0xb9e0
	s_movk_i32 s13, 0x3574
	s_mov_b32 s5, 0xb574
	s_movk_i32 s10, 0x370e
	s_movk_i32 s11, 0x3a52
	s_waitcnt vmcnt(0)
	v_mul_f16_sdwa v62, v3, v28 dst_sel:DWORD dst_unused:UNUSED_PAD src0_sel:DWORD src1_sel:WORD_1
	v_mul_f16_sdwa v64, v58, v29 dst_sel:DWORD dst_unused:UNUSED_PAD src0_sel:DWORD src1_sel:WORD_1
	;; [unrolled: 1-line block ×16, first 2 shown]
	v_fma_f16 v47, v47, v28, -v62
	v_fma_f16 v48, v48, v29, -v64
	v_mul_f16_sdwa v66, v34, v28 dst_sel:DWORD dst_unused:UNUSED_PAD src0_sel:DWORD src1_sel:WORD_1
	v_mul_f16_sdwa v67, v44, v28 dst_sel:DWORD dst_unused:UNUSED_PAD src0_sel:DWORD src1_sel:WORD_1
	;; [unrolled: 1-line block ×12, first 2 shown]
	v_fma_f16 v3, v3, v28, v63
	v_fma_f16 v58, v58, v29, v65
	v_fma_f16 v46, v46, v29, -v68
	v_fma_f16 v52, v52, v29, v69
	v_fma_f16 v45, v45, v29, -v72
	;; [unrolled: 2-line block ×6, first 2 shown]
	v_fma_f16 v29, v61, v29, v89
	v_add_f16_e32 v61, v47, v48
	v_fma_f16 v44, v44, v28, -v66
	v_fma_f16 v34, v34, v28, v67
	v_fma_f16 v42, v42, v28, -v70
	v_fma_f16 v35, v35, v28, v71
	;; [unrolled: 2-line block ×6, first 2 shown]
	v_add_f16_e32 v59, v26, v47
	v_fma_f16 v26, v61, -0.5, v26
	v_sub_f16_e32 v61, v3, v58
	v_fma_f16 v62, v61, s0, v26
	v_fma_f16 v26, v61, s1, v26
	v_add_f16_e32 v61, v33, v3
	v_add_f16_e32 v3, v3, v58
	v_add_f16_e32 v59, v59, v48
	v_fma_f16 v3, v3, -0.5, v33
	v_sub_f16_e32 v33, v47, v48
	v_add_f16_e32 v48, v44, v46
	v_fma_f16 v47, v33, s1, v3
	v_fma_f16 v3, v33, s0, v3
	v_add_f16_e32 v33, v25, v44
	v_fma_f16 v25, v48, -0.5, v25
	v_sub_f16_e32 v48, v34, v52
	v_add_f16_e32 v61, v61, v58
	v_fma_f16 v58, v48, s0, v25
	v_fma_f16 v25, v48, s1, v25
	v_add_f16_e32 v48, v60, v34
	v_add_f16_e32 v34, v34, v52
	v_add_f16_e32 v48, v48, v52
	v_fma_f16 v34, v34, -0.5, v60
	v_sub_f16_e32 v44, v44, v46
	v_add_f16_e32 v52, v42, v45
	v_add_f16_e32 v33, v33, v46
	v_fma_f16 v46, v44, s1, v34
	v_fma_f16 v34, v44, s0, v34
	v_add_f16_e32 v44, v24, v42
	v_fma_f16 v24, v52, -0.5, v24
	v_sub_f16_e32 v52, v35, v53
	v_fma_f16 v60, v52, s0, v24
	v_fma_f16 v24, v52, s1, v24
	v_add_f16_e32 v52, v30, v35
	v_add_f16_e32 v35, v35, v53
	;; [unrolled: 1-line block ×3, first 2 shown]
	v_fma_f16 v30, v35, -0.5, v30
	v_sub_f16_e32 v35, v42, v45
	v_add_f16_e32 v45, v40, v43
	v_fma_f16 v42, v35, s1, v30
	v_fma_f16 v30, v35, s0, v30
	v_add_f16_e32 v35, v23, v40
	v_fma_f16 v23, v45, -0.5, v23
	v_sub_f16_e32 v45, v49, v54
	v_add_f16_e32 v52, v52, v53
	v_fma_f16 v53, v45, s0, v23
	v_fma_f16 v23, v45, s1, v23
	v_add_f16_e32 v45, v31, v49
	v_add_f16_e32 v49, v49, v54
	v_fma_f16 v31, v49, -0.5, v31
	v_sub_f16_e32 v40, v40, v43
	v_add_f16_e32 v49, v36, v41
	v_add_f16_e32 v35, v35, v43
	v_fma_f16 v43, v40, s1, v31
	v_fma_f16 v31, v40, s0, v31
	v_add_f16_e32 v40, v22, v36
	v_fma_f16 v22, v49, -0.5, v22
	v_sub_f16_e32 v49, v50, v55
	v_add_f16_e32 v45, v45, v54
	v_fma_f16 v54, v49, s0, v22
	v_fma_f16 v22, v49, s1, v22
	v_add_f16_e32 v49, v0, v50
	v_add_f16_e32 v50, v50, v55
	v_fma_f16 v0, v50, -0.5, v0
	v_sub_f16_e32 v36, v36, v41
	v_add_f16_e32 v50, v32, v37
	;; [unrolled: 14-line block ×3, first 2 shown]
	v_add_f16_e32 v36, v36, v37
	v_fma_f16 v37, v32, s1, v1
	v_fma_f16 v1, v32, s0, v1
	v_add_f16_e32 v32, v2, v38
	v_fma_f16 v2, v51, -0.5, v2
	v_sub_f16_e32 v51, v28, v29
	v_add_f16_e32 v50, v50, v56
	v_fma_f16 v56, v51, s0, v2
	v_fma_f16 v2, v51, s1, v2
	v_add_f16_e32 v51, v57, v28
	v_add_f16_e32 v28, v28, v29
	;; [unrolled: 1-line block ×3, first 2 shown]
	v_fma_f16 v28, v28, -0.5, v57
	v_sub_f16_e32 v29, v38, v39
	v_fma_f16 v38, v29, s1, v28
	v_fma_f16 v28, v29, s0, v28
	v_lshrrev_b32_e32 v29, 3, v12
	v_mul_u32_u24_e32 v29, 24, v29
	v_or_b32_e32 v29, v29, v27
	v_lshl_add_u32 v29, v29, 1, 0
	ds_write_b16 v29, v59
	ds_write_b16 v29, v62 offset:16
	ds_write_b16 v29, v26 offset:32
	v_lshrrev_b32_e32 v26, 3, v13
	v_mul_lo_u32 v26, v26, 24
	v_or_b32_e32 v26, v26, v27
	v_lshl_add_u32 v26, v26, 1, 0
	ds_write_b16 v26, v33
	ds_write_b16 v26, v58 offset:16
	ds_write_b16 v26, v25 offset:32
	v_lshrrev_b32_e32 v25, 3, v8
	v_mul_lo_u32 v25, v25, 24
	v_or_b32_e32 v25, v25, v27
	v_add_f16_e32 v32, v32, v39
	v_lshl_add_u32 v25, v25, 1, 0
	s_movk_i32 s0, 0xab
	ds_write_b16 v25, v44
	ds_write_b16 v25, v60 offset:16
	ds_write_b16 v25, v24 offset:32
	ds_write_b16 v9, v35
	ds_write_b16 v9, v53 offset:16
	ds_write_b16 v9, v23 offset:32
	;; [unrolled: 3-line block ×5, first 2 shown]
	s_waitcnt lgkmcnt(0)
	; wave barrier
	s_waitcnt lgkmcnt(0)
	ds_read_u16 v32, v18
	ds_read_u16 v33, v19
	;; [unrolled: 1-line block ×4, first 2 shown]
	ds_read_u16 v39, v14 offset:448
	ds_read_u16 v40, v14 offset:1456
	;; [unrolled: 1-line block ×3, first 2 shown]
	ds_read_u16 v53, v17
	ds_read_u16 v54, v16
	ds_read_u16 v55, v14 offset:1344
	ds_read_u16 v56, v14 offset:1232
	;; [unrolled: 1-line block ×12, first 2 shown]
	s_waitcnt lgkmcnt(0)
	; wave barrier
	s_waitcnt lgkmcnt(0)
	ds_write_b16 v29, v61
	ds_write_b16 v29, v47 offset:16
	ds_write_b16 v29, v3 offset:32
	ds_write_b16 v26, v48
	ds_write_b16 v26, v46 offset:16
	ds_write_b16 v26, v34 offset:32
	;; [unrolled: 3-line block ×7, first 2 shown]
	v_mul_lo_u16_sdwa v0, v12, s0 dst_sel:DWORD dst_unused:UNUSED_PAD src0_sel:BYTE_0 src1_sel:DWORD
	v_lshrrev_b16_e32 v9, 12, v0
	v_mul_lo_u16_e32 v0, 24, v9
	v_sub_u16_e32 v34, v12, v0
	v_mov_b32_e32 v24, 6
	v_mul_u32_u24_sdwa v0, v34, v24 dst_sel:DWORD dst_unused:UNUSED_PAD src0_sel:BYTE_0 src1_sel:DWORD
	v_lshlrev_b32_e32 v20, 2, v0
	s_waitcnt lgkmcnt(0)
	; wave barrier
	s_waitcnt lgkmcnt(0)
	global_load_dwordx4 v[0:3], v20, s[8:9] offset:88
	global_load_dwordx2 v[10:11], v20, s[8:9] offset:104
	v_mul_lo_u16_sdwa v20, v13, s0 dst_sel:DWORD dst_unused:UNUSED_PAD src0_sel:BYTE_0 src1_sel:DWORD
	v_lshrrev_b16_e32 v37, 12, v20
	v_mul_lo_u16_e32 v20, 24, v37
	v_sub_u16_e32 v38, v13, v20
	v_mul_u32_u24_sdwa v20, v38, v24 dst_sel:DWORD dst_unused:UNUSED_PAD src0_sel:BYTE_0 src1_sel:DWORD
	v_lshlrev_b32_e32 v25, 2, v20
	global_load_dwordx4 v[20:23], v25, s[8:9] offset:88
	global_load_dwordx2 v[28:29], v25, s[8:9] offset:104
	v_mul_lo_u16_sdwa v25, v8, s0 dst_sel:DWORD dst_unused:UNUSED_PAD src0_sel:BYTE_0 src1_sel:DWORD
	v_lshrrev_b16_e32 v41, 12, v25
	v_mul_lo_u16_e32 v25, 24, v41
	v_sub_u16_e32 v42, v8, v25
	v_mul_u32_u24_sdwa v24, v42, v24 dst_sel:DWORD dst_unused:UNUSED_PAD src0_sel:BYTE_0 src1_sel:DWORD
	v_lshlrev_b32_e32 v30, 2, v24
	global_load_dwordx4 v[24:27], v30, s[8:9] offset:88
	ds_read_u16 v43, v18
	ds_read_u16 v45, v19
	;; [unrolled: 1-line block ×4, first 2 shown]
	ds_read_u16 v48, v14 offset:448
	ds_read_u16 v49, v14 offset:1456
	global_load_dwordx2 v[30:31], v30, s[8:9] offset:104
	ds_read_u16 v50, v14 offset:1792
	ds_read_u16 v51, v17
	ds_read_u16 v52, v16
	ds_read_u16 v61, v14 offset:1344
	ds_read_u16 v68, v14 offset:1232
	;; [unrolled: 1-line block ×12, first 2 shown]
	s_movk_i32 s0, 0x3b00
	s_movk_i32 s1, 0x39e0
	v_mul_u32_u24_e32 v9, 0x150, v9
	s_waitcnt lgkmcnt(0)
	; wave barrier
	s_waitcnt vmcnt(5) lgkmcnt(0)
	v_mul_f16_sdwa v79, v51, v0 dst_sel:DWORD dst_unused:UNUSED_PAD src0_sel:DWORD src1_sel:WORD_1
	v_fma_f16 v79, v53, v0, -v79
	v_mul_f16_sdwa v53, v53, v0 dst_sel:DWORD dst_unused:UNUSED_PAD src0_sel:DWORD src1_sel:WORD_1
	v_fma_f16 v0, v51, v0, v53
	v_mul_f16_sdwa v51, v43, v1 dst_sel:DWORD dst_unused:UNUSED_PAD src0_sel:DWORD src1_sel:WORD_1
	v_fma_f16 v51, v32, v1, -v51
	v_mul_f16_sdwa v32, v32, v1 dst_sel:DWORD dst_unused:UNUSED_PAD src0_sel:DWORD src1_sel:WORD_1
	v_fma_f16 v1, v43, v1, v32
	;; [unrolled: 4-line block ×3, first 2 shown]
	v_mul_f16_sdwa v33, v61, v3 dst_sel:DWORD dst_unused:UNUSED_PAD src0_sel:DWORD src1_sel:WORD_1
	v_mul_f16_sdwa v43, v55, v3 dst_sel:DWORD dst_unused:UNUSED_PAD src0_sel:DWORD src1_sel:WORD_1
	v_fma_f16 v33, v55, v3, -v33
	v_fma_f16 v3, v61, v3, v43
	s_waitcnt vmcnt(4)
	v_mul_f16_sdwa v43, v77, v10 dst_sel:DWORD dst_unused:UNUSED_PAD src0_sel:DWORD src1_sel:WORD_1
	v_mul_f16_sdwa v45, v66, v10 dst_sel:DWORD dst_unused:UNUSED_PAD src0_sel:DWORD src1_sel:WORD_1
	v_fma_f16 v43, v66, v10, -v43
	v_fma_f16 v10, v77, v10, v45
	v_mul_f16_sdwa v45, v75, v11 dst_sel:DWORD dst_unused:UNUSED_PAD src0_sel:DWORD src1_sel:WORD_1
	v_mul_f16_sdwa v53, v64, v11 dst_sel:DWORD dst_unused:UNUSED_PAD src0_sel:DWORD src1_sel:WORD_1
	v_fma_f16 v45, v64, v11, -v45
	v_fma_f16 v11, v75, v11, v53
	s_waitcnt vmcnt(3)
	v_mul_f16_sdwa v53, v48, v20 dst_sel:DWORD dst_unused:UNUSED_PAD src0_sel:DWORD src1_sel:WORD_1
	v_fma_f16 v53, v39, v20, -v53
	v_mul_f16_sdwa v39, v39, v20 dst_sel:DWORD dst_unused:UNUSED_PAD src0_sel:DWORD src1_sel:WORD_1
	v_fma_f16 v20, v48, v20, v39
	v_mul_f16_sdwa v39, v71, v21 dst_sel:DWORD dst_unused:UNUSED_PAD src0_sel:DWORD src1_sel:WORD_1
	v_mul_f16_sdwa v48, v59, v21 dst_sel:DWORD dst_unused:UNUSED_PAD src0_sel:DWORD src1_sel:WORD_1
	v_fma_f16 v39, v59, v21, -v39
	v_fma_f16 v21, v71, v21, v48
	v_mul_f16_sdwa v48, v69, v22 dst_sel:DWORD dst_unused:UNUSED_PAD src0_sel:DWORD src1_sel:WORD_1
	v_mul_f16_sdwa v55, v57, v22 dst_sel:DWORD dst_unused:UNUSED_PAD src0_sel:DWORD src1_sel:WORD_1
	v_fma_f16 v48, v57, v22, -v48
	v_fma_f16 v22, v69, v22, v55
	v_mul_f16_sdwa v55, v49, v23 dst_sel:DWORD dst_unused:UNUSED_PAD src0_sel:DWORD src1_sel:WORD_1
	v_fma_f16 v55, v40, v23, -v55
	v_mul_f16_sdwa v40, v40, v23 dst_sel:DWORD dst_unused:UNUSED_PAD src0_sel:DWORD src1_sel:WORD_1
	v_fma_f16 v23, v49, v23, v40
	s_waitcnt vmcnt(2)
	v_mul_f16_sdwa v40, v50, v28 dst_sel:DWORD dst_unused:UNUSED_PAD src0_sel:DWORD src1_sel:WORD_1
	v_fma_f16 v40, v44, v28, -v40
	v_mul_f16_sdwa v44, v44, v28 dst_sel:DWORD dst_unused:UNUSED_PAD src0_sel:DWORD src1_sel:WORD_1
	v_fma_f16 v28, v50, v28, v44
	v_mul_f16_sdwa v44, v73, v29 dst_sel:DWORD dst_unused:UNUSED_PAD src0_sel:DWORD src1_sel:WORD_1
	v_mul_f16_sdwa v49, v62, v29 dst_sel:DWORD dst_unused:UNUSED_PAD src0_sel:DWORD src1_sel:WORD_1
	v_fma_f16 v44, v62, v29, -v44
	v_fma_f16 v29, v73, v29, v49
	s_waitcnt vmcnt(1)
	v_mul_f16_sdwa v49, v72, v24 dst_sel:DWORD dst_unused:UNUSED_PAD src0_sel:DWORD src1_sel:WORD_1
	v_mul_f16_sdwa v50, v60, v24 dst_sel:DWORD dst_unused:UNUSED_PAD src0_sel:DWORD src1_sel:WORD_1
	v_fma_f16 v49, v60, v24, -v49
	v_fma_f16 v24, v72, v24, v50
	v_mul_f16_sdwa v50, v70, v25 dst_sel:DWORD dst_unused:UNUSED_PAD src0_sel:DWORD src1_sel:WORD_1
	v_mul_f16_sdwa v57, v58, v25 dst_sel:DWORD dst_unused:UNUSED_PAD src0_sel:DWORD src1_sel:WORD_1
	v_fma_f16 v50, v58, v25, -v50
	v_fma_f16 v25, v70, v25, v57
	v_mul_f16_sdwa v57, v68, v26 dst_sel:DWORD dst_unused:UNUSED_PAD src0_sel:DWORD src1_sel:WORD_1
	v_fma_f16 v57, v56, v26, -v57
	v_mul_f16_sdwa v56, v56, v26 dst_sel:DWORD dst_unused:UNUSED_PAD src0_sel:DWORD src1_sel:WORD_1
	v_fma_f16 v26, v68, v26, v56
	v_mul_f16_sdwa v56, v78, v27 dst_sel:DWORD dst_unused:UNUSED_PAD src0_sel:DWORD src1_sel:WORD_1
	v_mul_f16_sdwa v58, v67, v27 dst_sel:DWORD dst_unused:UNUSED_PAD src0_sel:DWORD src1_sel:WORD_1
	v_fma_f16 v56, v67, v27, -v56
	v_fma_f16 v27, v78, v27, v58
	s_waitcnt vmcnt(0)
	v_mul_f16_sdwa v58, v76, v30 dst_sel:DWORD dst_unused:UNUSED_PAD src0_sel:DWORD src1_sel:WORD_1
	v_mul_f16_sdwa v59, v65, v30 dst_sel:DWORD dst_unused:UNUSED_PAD src0_sel:DWORD src1_sel:WORD_1
	v_fma_f16 v58, v65, v30, -v58
	v_fma_f16 v30, v76, v30, v59
	v_mul_f16_sdwa v59, v74, v31 dst_sel:DWORD dst_unused:UNUSED_PAD src0_sel:DWORD src1_sel:WORD_1
	v_mul_f16_sdwa v60, v63, v31 dst_sel:DWORD dst_unused:UNUSED_PAD src0_sel:DWORD src1_sel:WORD_1
	v_fma_f16 v59, v63, v31, -v59
	v_fma_f16 v31, v74, v31, v60
	v_add_f16_e32 v60, v79, v45
	v_add_f16_e32 v61, v0, v11
	v_sub_f16_e32 v0, v0, v11
	v_add_f16_e32 v11, v51, v43
	v_add_f16_e32 v62, v1, v10
	v_sub_f16_e32 v45, v79, v45
	v_sub_f16_e32 v43, v51, v43
	;; [unrolled: 1-line block ×3, first 2 shown]
	v_add_f16_e32 v10, v32, v33
	v_add_f16_e32 v51, v2, v3
	v_sub_f16_e32 v32, v33, v32
	v_sub_f16_e32 v2, v3, v2
	v_add_f16_e32 v3, v11, v60
	v_add_f16_e32 v33, v62, v61
	v_sub_f16_e32 v63, v11, v60
	v_sub_f16_e32 v64, v62, v61
	;; [unrolled: 1-line block ×6, first 2 shown]
	v_add_f16_e32 v65, v32, v43
	v_add_f16_e32 v66, v2, v1
	v_sub_f16_e32 v67, v32, v43
	v_sub_f16_e32 v68, v2, v1
	;; [unrolled: 1-line block ×4, first 2 shown]
	v_add_f16_e32 v3, v10, v3
	v_add_f16_e32 v10, v51, v33
	v_sub_f16_e32 v32, v45, v32
	v_sub_f16_e32 v2, v0, v2
	v_add_f16_e32 v33, v65, v45
	v_add_f16_e32 v0, v66, v0
	;; [unrolled: 1-line block ×4, first 2 shown]
	v_mul_f16_e32 v47, 0x3a52, v60
	v_mul_f16_e32 v51, 0x3a52, v61
	;; [unrolled: 1-line block ×8, first 2 shown]
	v_fma_f16 v3, v3, s12, v36
	v_fma_f16 v10, v10, s12, v45
	;; [unrolled: 1-line block ×4, first 2 shown]
	v_fma_f16 v60, v63, s1, -v60
	v_fma_f16 v61, v64, s1, -v61
	;; [unrolled: 1-line block ×4, first 2 shown]
	v_fma_f16 v63, v32, s13, v65
	v_fma_f16 v64, v2, s13, v66
	v_fma_f16 v1, v1, s0, -v66
	v_fma_f16 v32, v32, s5, -v67
	;; [unrolled: 1-line block ×4, first 2 shown]
	v_add_f16_e32 v11, v11, v3
	v_add_f16_e32 v62, v62, v10
	;; [unrolled: 1-line block ×6, first 2 shown]
	v_fma_f16 v47, v33, s10, v63
	v_fma_f16 v51, v0, s10, v64
	v_fma_f16 v1, v0, s10, v1
	v_fma_f16 v32, v33, s10, v32
	v_fma_f16 v0, v0, s10, v2
	v_fma_f16 v43, v33, s10, v43
	v_add_f16_e32 v2, v51, v11
	v_sub_f16_e32 v63, v62, v47
	v_add_f16_e32 v33, v0, v3
	v_sub_f16_e32 v64, v10, v32
	v_sub_f16_e32 v0, v3, v0
	v_add_f16_e32 v3, v32, v10
	v_sub_f16_e32 v10, v11, v51
	v_add_f16_e32 v11, v47, v62
	v_add_f16_e32 v32, v53, v44
	;; [unrolled: 1-line block ×3, first 2 shown]
	v_sub_f16_e32 v20, v20, v29
	v_add_f16_e32 v29, v39, v40
	v_add_f16_e32 v51, v21, v28
	v_sub_f16_e32 v44, v53, v44
	v_sub_f16_e32 v39, v39, v40
	v_sub_f16_e32 v21, v21, v28
	v_add_f16_e32 v28, v48, v55
	v_add_f16_e32 v40, v22, v23
	v_sub_f16_e32 v48, v55, v48
	v_sub_f16_e32 v22, v23, v22
	v_add_f16_e32 v23, v29, v32
	v_add_f16_e32 v53, v51, v47
	v_sub_f16_e32 v65, v60, v1
	v_add_f16_e32 v66, v43, v61
	v_add_f16_e32 v1, v1, v60
	v_sub_f16_e32 v43, v61, v43
	v_sub_f16_e32 v55, v29, v32
	v_sub_f16_e32 v60, v51, v47
	v_sub_f16_e32 v32, v32, v28
	v_sub_f16_e32 v47, v47, v40
	v_sub_f16_e32 v29, v28, v29
	v_sub_f16_e32 v51, v40, v51
	v_add_f16_e32 v61, v48, v39
	v_add_f16_e32 v62, v22, v21
	v_sub_f16_e32 v67, v48, v39
	v_sub_f16_e32 v68, v22, v21
	;; [unrolled: 1-line block ×4, first 2 shown]
	v_add_f16_e32 v23, v28, v23
	v_add_f16_e32 v28, v40, v53
	v_sub_f16_e32 v48, v44, v48
	v_sub_f16_e32 v22, v20, v22
	v_add_f16_e32 v40, v61, v44
	v_add_f16_e32 v20, v62, v20
	;; [unrolled: 1-line block ×4, first 2 shown]
	v_mul_f16_e32 v32, 0x3a52, v32
	v_mul_f16_e32 v46, 0x3a52, v47
	;; [unrolled: 1-line block ×8, first 2 shown]
	v_fma_f16 v23, v23, s12, v35
	v_fma_f16 v28, v28, s12, v44
	v_fma_f16 v29, v29, s14, v32
	v_fma_f16 v51, v51, s14, v46
	v_fma_f16 v47, v55, s1, -v47
	v_fma_f16 v53, v60, s1, -v53
	;; [unrolled: 1-line block ×4, first 2 shown]
	v_fma_f16 v55, v48, s13, v61
	v_fma_f16 v60, v22, s13, v62
	v_fma_f16 v39, v39, s0, -v61
	v_fma_f16 v21, v21, s0, -v62
	;; [unrolled: 1-line block ×4, first 2 shown]
	v_add_f16_e32 v29, v29, v23
	v_add_f16_e32 v51, v51, v28
	;; [unrolled: 1-line block ×6, first 2 shown]
	v_fma_f16 v32, v40, s10, v55
	v_fma_f16 v46, v20, s10, v60
	;; [unrolled: 1-line block ×6, first 2 shown]
	v_add_f16_e32 v22, v46, v29
	v_add_f16_e32 v55, v20, v23
	v_sub_f16_e32 v60, v28, v40
	v_sub_f16_e32 v61, v47, v21
	v_add_f16_e32 v62, v39, v53
	v_add_f16_e32 v21, v21, v47
	v_sub_f16_e32 v47, v53, v39
	v_sub_f16_e32 v20, v23, v20
	v_add_f16_e32 v53, v40, v28
	v_sub_f16_e32 v23, v29, v46
	v_add_f16_e32 v28, v49, v59
	v_add_f16_e32 v29, v24, v31
	v_sub_f16_e32 v24, v24, v31
	v_add_f16_e32 v31, v50, v58
	;; [unrolled: 3-line block ×3, first 2 shown]
	v_sub_f16_e32 v32, v49, v59
	v_sub_f16_e32 v40, v50, v58
	;; [unrolled: 1-line block ×3, first 2 shown]
	v_add_f16_e32 v30, v57, v56
	v_add_f16_e32 v49, v26, v27
	v_sub_f16_e32 v50, v56, v57
	v_sub_f16_e32 v26, v27, v26
	v_add_f16_e32 v27, v31, v28
	v_add_f16_e32 v51, v39, v29
	v_sub_f16_e32 v56, v31, v28
	v_sub_f16_e32 v57, v39, v29
	;; [unrolled: 1-line block ×6, first 2 shown]
	v_add_f16_e32 v58, v50, v40
	v_add_f16_e32 v59, v26, v25
	v_sub_f16_e32 v67, v50, v40
	v_sub_f16_e32 v68, v26, v25
	;; [unrolled: 1-line block ×3, first 2 shown]
	v_add_f16_e32 v27, v30, v27
	v_add_f16_e32 v30, v49, v51
	v_sub_f16_e32 v50, v32, v50
	v_sub_f16_e32 v26, v24, v26
	;; [unrolled: 1-line block ×3, first 2 shown]
	v_add_f16_e32 v32, v58, v32
	v_add_f16_e32 v24, v59, v24
	v_add_f16_e32 v49, v54, v27
	v_add_f16_e32 v51, v52, v30
	v_mul_f16_e32 v28, 0x3a52, v28
	v_mul_f16_e32 v29, 0x3a52, v29
	;; [unrolled: 1-line block ×8, first 2 shown]
	v_fma_f16 v27, v27, s12, v49
	v_fma_f16 v30, v30, s12, v51
	;; [unrolled: 1-line block ×4, first 2 shown]
	v_fma_f16 v52, v56, s1, -v52
	v_fma_f16 v54, v57, s1, -v54
	;; [unrolled: 1-line block ×4, first 2 shown]
	v_fma_f16 v56, v50, s13, v58
	v_fma_f16 v40, v40, s0, -v58
	v_fma_f16 v25, v25, s0, -v59
	;; [unrolled: 1-line block ×3, first 2 shown]
	v_fma_f16 v57, v26, s13, v59
	v_add_f16_e32 v31, v31, v27
	v_add_f16_e32 v52, v52, v27
	;; [unrolled: 1-line block ×5, first 2 shown]
	v_fma_f16 v29, v32, s10, v56
	v_fma_f16 v40, v32, s10, v40
	;; [unrolled: 1-line block ×4, first 2 shown]
	v_add_f16_e32 v39, v39, v30
	v_fma_f16 v30, v24, s10, v57
	v_sub_f16_e32 v57, v28, v32
	v_sub_f16_e32 v58, v52, v25
	v_add_f16_e32 v59, v40, v54
	v_add_f16_e32 v25, v25, v52
	v_sub_f16_e32 v52, v54, v40
	v_add_f16_e32 v54, v32, v28
	v_mov_b32_e32 v28, 1
	v_sub_f16_e32 v50, v39, v29
	v_add_f16_e32 v67, v29, v39
	v_lshlrev_b32_sdwa v29, v28, v34 dst_sel:DWORD dst_unused:UNUSED_PAD src0_sel:DWORD src1_sel:BYTE_0
	v_add3_u32 v9, 0, v9, v29
	v_fma_f16 v26, v26, s5, -v68
	ds_write_b16 v9, v36
	ds_write_b16 v9, v2 offset:48
	ds_write_b16 v9, v33 offset:96
	;; [unrolled: 1-line block ×6, first 2 shown]
	v_mul_u32_u24_e32 v0, 0x150, v37
	v_lshlrev_b32_sdwa v1, v28, v38 dst_sel:DWORD dst_unused:UNUSED_PAD src0_sel:DWORD src1_sel:BYTE_0
	v_fma_f16 v24, v24, s10, v26
	v_add3_u32 v0, 0, v0, v1
	v_mul_u32_u24_e32 v1, 0x150, v41
	v_lshlrev_b32_sdwa v2, v28, v42 dst_sel:DWORD dst_unused:UNUSED_PAD src0_sel:DWORD src1_sel:BYTE_0
	v_add_f16_e32 v26, v30, v31
	v_add_f16_e32 v56, v24, v27
	v_sub_f16_e32 v24, v27, v24
	v_sub_f16_e32 v27, v31, v30
	v_add3_u32 v1, 0, v1, v2
	ds_write_b16 v0, v35
	ds_write_b16 v0, v22 offset:48
	ds_write_b16 v0, v55 offset:96
	;; [unrolled: 1-line block ×6, first 2 shown]
	ds_write_b16 v1, v49
	ds_write_b16 v1, v26 offset:48
	ds_write_b16 v1, v56 offset:96
	ds_write_b16 v1, v58 offset:144
	ds_write_b16 v1, v25 offset:192
	ds_write_b16 v1, v24 offset:240
	ds_write_b16 v1, v27 offset:288
	s_waitcnt lgkmcnt(0)
	; wave barrier
	s_waitcnt lgkmcnt(0)
	ds_read_u16 v21, v18
	ds_read_u16 v22, v19
	;; [unrolled: 1-line block ×4, first 2 shown]
	ds_read_u16 v31, v14 offset:448
	ds_read_u16 v29, v14 offset:1456
	;; [unrolled: 1-line block ×3, first 2 shown]
	ds_read_u16 v24, v17
	ds_read_u16 v34, v16
	ds_read_u16 v23, v14 offset:1344
	ds_read_u16 v35, v14 offset:1232
	ds_read_u16 v32, v14 offset:1120
	ds_read_u16 v36, v14 offset:896
	ds_read_u16 v30, v14 offset:784
	ds_read_u16 v37, v14 offset:560
	ds_read_u16 v33, v14 offset:2128
	ds_read_u16 v39, v14 offset:2240
	ds_read_u16 v26, v14 offset:2016
	ds_read_u16 v38, v14 offset:1904
	ds_read_u16 v25, v14 offset:1680
	ds_read_u16 v40, v14 offset:1568
	s_waitcnt lgkmcnt(0)
	; wave barrier
	s_waitcnt lgkmcnt(0)
	ds_write_b16 v9, v45
	ds_write_b16 v9, v63 offset:48
	ds_write_b16 v9, v64 offset:96
	ds_write_b16 v9, v66 offset:144
	ds_write_b16 v9, v43 offset:192
	ds_write_b16 v9, v3 offset:240
	ds_write_b16 v9, v11 offset:288
	ds_write_b16 v0, v44
	ds_write_b16 v0, v48 offset:48
	ds_write_b16 v0, v60 offset:96
	ds_write_b16 v0, v62 offset:144
	ds_write_b16 v0, v47 offset:192
	ds_write_b16 v0, v53 offset:240
	ds_write_b16 v0, v46 offset:288
	;; [unrolled: 7-line block ×3, first 2 shown]
	s_waitcnt lgkmcnt(0)
	; wave barrier
	s_waitcnt lgkmcnt(0)
	s_and_saveexec_b64 s[14:15], vcc
	s_cbranch_execz .LBB0_37
; %bb.36:
	v_mul_i32_i24_e32 v10, 6, v8
	v_mov_b32_e32 v11, 0
	v_lshl_add_u64 v[42:43], v[10:11], 2, s[8:9]
	global_load_dwordx4 v[0:3], v[42:43], off offset:664
	global_load_dwordx2 v[8:9], v[42:43], off offset:680
	v_mul_lo_u32 v10, s3, v6
	v_mul_lo_u32 v41, s2, v7
	v_mad_u64_u32 v[6:7], s[2:3], s2, v6, 0
	v_add3_u32 v7, v7, v41, v10
	v_mul_i32_i24_e32 v10, 6, v13
	v_lshl_add_u64 v[10:11], v[10:11], 2, s[8:9]
	ds_read_u16 v44, v14 offset:2240
	ds_read_u16 v45, v14 offset:2128
	;; [unrolled: 1-line block ×13, first 2 shown]
	ds_read_u16 v57, v17
	ds_read_u16 v58, v19
	;; [unrolled: 1-line block ×5, first 2 shown]
	global_load_dwordx4 v[16:19], v[10:11], off offset:664
	global_load_dwordx2 v[42:43], v[10:11], off offset:680
	ds_read_u16 v61, v14 offset:560
	ds_read_u16 v65, v14 offset:448
	ds_read_u16 v14, v14
	s_mov_b32 s2, 0x18618619
	s_movk_i32 s3, 0xa8
	v_lshl_add_u64 v[6:7], v[6:7], 2, s[6:7]
	v_lshl_add_u64 v[4:5], v[4:5], 2, v[6:7]
	s_waitcnt vmcnt(3)
	v_lshrrev_b32_e32 v10, 16, v0
	v_lshrrev_b32_e32 v11, 16, v1
	s_waitcnt vmcnt(2)
	v_lshrrev_b32_e32 v62, 16, v8
	v_lshrrev_b32_e32 v63, 16, v9
	;; [unrolled: 1-line block ×4, first 2 shown]
	s_waitcnt lgkmcnt(14)
	v_mul_f16_e32 v64, v9, v44
	s_waitcnt lgkmcnt(2)
	v_mul_f16_e32 v66, v0, v61
	v_mul_f16_e32 v69, v8, v47
	;; [unrolled: 1-line block ×11, first 2 shown]
	v_fma_f16 v63, v39, v63, v64
	v_fma_f16 v10, v37, v10, v66
	v_fma_f16 v62, v38, v62, v69
	v_fma_f16 v11, v36, v11, v70
	v_fma_f16 v0, v37, v0, -v61
	v_fma_f16 v9, v39, v9, -v44
	;; [unrolled: 1-line block ×4, first 2 shown]
	v_fma_f16 v13, v35, v13, v67
	v_fma_f16 v41, v40, v41, v68
	v_fma_f16 v3, v40, v3, -v50
	v_fma_f16 v2, v35, v2, -v53
	v_add_f16_e32 v35, v10, v63
	v_add_f16_e32 v37, v11, v62
	v_sub_f16_e32 v38, v0, v9
	v_sub_f16_e32 v40, v1, v8
	v_add_f16_e32 v9, v0, v9
	v_add_f16_e32 v1, v1, v8
	;; [unrolled: 1-line block ×3, first 2 shown]
	v_sub_f16_e32 v39, v3, v2
	v_add_f16_e32 v50, v35, v37
	v_add_f16_e32 v2, v3, v2
	;; [unrolled: 1-line block ×3, first 2 shown]
	v_sub_f16_e32 v44, v35, v36
	v_sub_f16_e32 v47, v36, v37
	v_add_f16_e32 v36, v36, v50
	v_sub_f16_e32 v50, v9, v2
	v_sub_f16_e32 v8, v2, v1
	v_add_f16_e32 v2, v2, v66
	v_sub_f16_e32 v10, v10, v63
	v_sub_f16_e32 v13, v41, v13
	v_sub_f16_e32 v11, v11, v62
	v_sub_f16_e32 v3, v38, v39
	v_sub_f16_e32 v0, v39, v40
	v_add_f16_e32 v39, v39, v40
	v_mul_f16_e32 v47, 0x2b26, v47
	v_mul_f16_e32 v64, 0x3a52, v50
	;; [unrolled: 1-line block ×3, first 2 shown]
	v_add_f16_e32 v34, v34, v2
	v_sub_f16_e32 v41, v10, v13
	v_sub_f16_e32 v62, v13, v11
	v_add_f16_e32 v13, v13, v11
	v_sub_f16_e32 v1, v1, v9
	v_mul_f16_e32 v53, 0x3a52, v44
	v_mul_f16_e32 v55, 0xb846, v0
	v_add_f16_e32 v39, v38, v39
	v_fma_f16 v0, v44, s11, v47
	v_add_f16_e32 v44, v60, v36
	v_fma_f16 v50, v50, s11, v8
	v_fma_f16 v2, v2, s12, v34
	v_add_f16_e32 v13, v10, v13
	v_sub_f16_e32 v38, v40, v38
	v_sub_f16_e32 v35, v37, v35
	v_fma_f16 v9, v1, s4, -v64
	v_sub_f16_e32 v10, v11, v10
	v_fma_f16 v1, v1, s1, -v8
	v_fma_f16 v36, v36, s12, v44
	v_add_f16_e32 v50, v50, v2
	v_mul_f16_e32 v62, 0xb846, v62
	v_mul_f16_e32 v40, 0x3b00, v38
	v_fma_f16 v37, v35, s4, -v53
	v_add_f16_e32 v9, v9, v2
	v_mul_f16_e32 v11, 0x3b00, v10
	v_fma_f16 v35, v35, s1, -v47
	v_add_f16_e32 v1, v1, v2
	s_waitcnt vmcnt(1)
	v_lshrrev_b32_e32 v2, 16, v16
	v_fma_f16 v60, v3, s13, v55
	v_add_f16_e32 v61, v0, v36
	v_fma_f16 v63, v41, s13, v62
	v_fma_f16 v3, v3, s5, -v40
	v_add_f16_e32 v37, v37, v36
	v_fma_f16 v11, v41, s5, -v11
	v_add_f16_e32 v35, v35, v36
	v_fma_f16 v36, v38, s0, -v55
	s_waitcnt lgkmcnt(1)
	v_mul_f16_e32 v8, v2, v65
	v_fma_f16 v63, v13, s10, v63
	v_fma_f16 v3, v39, s10, v3
	v_fma_f16 v11, v13, s10, v11
	v_fma_f16 v36, v39, s10, v36
	v_fma_f16 v10, v10, s0, -v62
	v_fma_f16 v55, v31, v16, -v8
	s_waitcnt vmcnt(0)
	v_lshrrev_b32_e32 v8, 16, v43
	v_fma_f16 v60, v39, s10, v60
	v_sub_f16_e32 v66, v50, v63
	v_add_f16_e32 v40, v3, v37
	v_sub_f16_e32 v41, v9, v11
	v_sub_f16_e32 v38, v35, v36
	v_fma_f16 v10, v13, s10, v10
	v_add_f16_e32 v35, v36, v35
	v_sub_f16_e32 v36, v37, v3
	v_add_f16_e32 v37, v11, v9
	v_add_f16_e32 v47, v63, v50
	v_lshrrev_b32_e32 v50, 16, v17
	v_lshrrev_b32_e32 v53, 16, v19
	v_mul_f16_e32 v9, v8, v45
	v_add_f16_e32 v0, v60, v61
	v_add_f16_e32 v13, v10, v1
	v_sub_f16_e32 v1, v1, v10
	v_sub_f16_e32 v39, v61, v60
	v_lshrrev_b32_e32 v3, 16, v18
	v_lshrrev_b32_e32 v60, 16, v42
	v_fma_f16 v61, v33, v43, -v9
	v_mul_f16_e32 v9, v53, v51
	v_mul_f16_e32 v10, v50, v56
	v_fma_f16 v63, v29, v19, -v9
	v_mul_f16_e32 v9, v3, v54
	v_fma_f16 v68, v30, v17, -v10
	;; [unrolled: 2-line block ×3, first 2 shown]
	v_fma_f16 v69, v28, v42, -v10
	v_sub_f16_e32 v62, v55, v61
	v_sub_f16_e32 v9, v63, v64
	;; [unrolled: 1-line block ×5, first 2 shown]
	v_add_f16_e32 v9, v9, v70
	v_add_f16_e32 v72, v62, v9
	v_mul_f16_e32 v9, v43, v45
	v_fma_f16 v33, v33, v8, v9
	v_mul_f16_e32 v8, v16, v65
	v_mul_f16_e32 v71, 0xb846, v10
	v_fma_f16 v16, v31, v2, v8
	v_mul_u32_u24_e32 v2, 6, v12
	v_mul_f16_e32 v18, v18, v54
	v_fma_f16 v10, v67, s13, v71
	v_lshlrev_b32_e32 v2, 2, v2
	v_fma_f16 v18, v32, v3, v18
	v_mul_f16_e32 v3, v19, v51
	v_fma_f16 v73, v72, s10, v10
	global_load_dwordx4 v[8:11], v2, s[8:9] offset:664
	v_fma_f16 v19, v29, v53, v3
	global_load_dwordx2 v[2:3], v2, s[8:9] offset:680
	v_mul_f16_e32 v42, v42, v48
	v_mul_f16_e32 v17, v17, v56
	v_fma_f16 v28, v28, v60, v42
	v_fma_f16 v17, v30, v50, v17
	v_add_f16_e32 v31, v16, v33
	v_add_f16_e32 v29, v19, v18
	;; [unrolled: 1-line block ×3, first 2 shown]
	v_sub_f16_e32 v16, v16, v33
	v_sub_f16_e32 v18, v19, v18
	;; [unrolled: 1-line block ×3, first 2 shown]
	v_add_f16_e32 v45, v31, v30
	v_add_f16_e32 v48, v55, v61
	;; [unrolled: 1-line block ×3, first 2 shown]
	v_sub_f16_e32 v19, v16, v18
	v_sub_f16_e32 v28, v18, v17
	v_add_f16_e32 v18, v18, v17
	v_sub_f16_e32 v32, v31, v29
	v_sub_f16_e32 v42, v29, v30
	v_add_f16_e32 v29, v29, v45
	v_add_f16_e32 v50, v63, v64
	;; [unrolled: 1-line block ×4, first 2 shown]
	v_sub_f16_e32 v16, v17, v16
	v_mul_f16_e32 v43, 0x3a52, v32
	v_mul_f16_e32 v42, 0x2b26, v42
	v_add_f16_e32 v15, v15, v29
	v_sub_f16_e32 v51, v48, v50
	v_sub_f16_e32 v55, v50, v54
	v_add_f16_e32 v50, v50, v56
	v_mul_f16_e32 v28, 0xb846, v28
	v_sub_f16_e32 v60, v70, v62
	v_sub_f16_e32 v30, v30, v31
	v_mul_f16_e32 v17, 0x3b00, v16
	v_fma_f16 v32, v32, s11, v42
	v_fma_f16 v29, v29, s12, v15
	v_mul_f16_e32 v53, 0x3a52, v51
	v_mul_f16_e32 v55, 0x2b26, v55
	v_add_f16_e32 v27, v27, v50
	v_fma_f16 v33, v19, s13, v28
	v_mul_f16_e32 v61, 0x3b00, v60
	v_fma_f16 v31, v30, s4, -v43
	v_sub_f16_e32 v48, v54, v48
	v_fma_f16 v17, v19, s5, -v17
	v_fma_f16 v30, v30, s1, -v42
	;; [unrolled: 1-line block ×3, first 2 shown]
	v_add_f16_e32 v32, v32, v29
	v_fma_f16 v51, v51, s11, v55
	v_fma_f16 v50, v50, s12, v27
	;; [unrolled: 1-line block ×3, first 2 shown]
	v_fma_f16 v61, v67, s5, -v61
	v_add_f16_e32 v31, v31, v29
	v_fma_f16 v53, v48, s4, -v53
	v_fma_f16 v17, v18, s10, v17
	v_add_f16_e32 v29, v30, v29
	v_fma_f16 v30, v60, s0, -v71
	v_fma_f16 v16, v18, s10, v16
	v_fma_f16 v18, v48, s1, -v55
	v_add_f16_e32 v51, v51, v50
	v_fma_f16 v61, v72, s10, v61
	v_add_f16_e32 v53, v53, v50
	v_fma_f16 v30, v72, s10, v30
	v_add_f16_e32 v18, v18, v50
	v_add_f16_e32 v45, v73, v32
	v_sub_f16_e32 v56, v51, v33
	v_add_f16_e32 v43, v61, v31
	v_sub_f16_e32 v19, v53, v17
	v_sub_f16_e32 v42, v29, v30
	v_add_f16_e32 v28, v16, v18
	v_add_f16_e32 v29, v30, v29
	v_sub_f16_e32 v16, v18, v16
	v_sub_f16_e32 v18, v31, v61
	v_add_f16_e32 v17, v17, v53
	v_sub_f16_e32 v30, v32, v73
	v_add_f16_e32 v31, v33, v51
	v_pack_b32_f16 v1, v1, v35
	v_pack_b32_f16 v0, v66, v0
	s_waitcnt vmcnt(1)
	v_lshrrev_b32_e32 v32, 16, v8
	v_lshrrev_b32_e32 v33, 16, v9
	s_waitcnt vmcnt(0)
	v_lshrrev_b32_e32 v53, 16, v2
	v_lshrrev_b32_e32 v54, 16, v3
	;; [unrolled: 1-line block ×4, first 2 shown]
	v_mul_f16_e32 v51, v32, v57
	v_mul_f16_e32 v55, v54, v46
	;; [unrolled: 1-line block ×4, first 2 shown]
	v_fma_f16 v51, v24, v8, -v51
	v_fma_f16 v55, v26, v3, -v55
	v_mul_f16_e32 v61, v50, v52
	v_mul_f16_e32 v62, v48, v58
	v_fma_f16 v65, v21, v9, -v65
	v_fma_f16 v67, v25, v2, -v67
	v_mul_f16_e32 v3, v3, v46
	v_mul_f16_e32 v8, v8, v57
	;; [unrolled: 1-line block ×4, first 2 shown]
	v_fma_f16 v61, v23, v11, -v61
	v_fma_f16 v62, v22, v10, -v62
	v_fma_f16 v3, v26, v54, v3
	v_fma_f16 v8, v24, v32, v8
	v_mul_f16_e32 v10, v10, v58
	v_mul_f16_e32 v11, v11, v52
	v_fma_f16 v2, v25, v53, v2
	v_fma_f16 v9, v21, v33, v9
	v_add_f16_e32 v24, v8, v3
	v_fma_f16 v10, v22, v48, v10
	v_fma_f16 v11, v23, v50, v11
	v_add_f16_e32 v21, v9, v2
	v_add_f16_e32 v22, v11, v10
	;; [unrolled: 1-line block ×5, first 2 shown]
	v_sub_f16_e32 v3, v8, v3
	v_sub_f16_e32 v8, v11, v10
	;; [unrolled: 1-line block ×7, first 2 shown]
	v_add_f16_e32 v22, v22, v32
	v_add_f16_e32 v46, v61, v62
	;; [unrolled: 1-line block ×3, first 2 shown]
	v_sub_f16_e32 v10, v3, v8
	v_sub_f16_e32 v9, v8, v2
	v_add_f16_e32 v8, v8, v2
	v_sub_f16_e32 v2, v2, v3
	v_sub_f16_e32 v60, v51, v55
	;; [unrolled: 1-line block ×3, first 2 shown]
	v_mul_f16_e32 v26, 0x3a52, v23
	v_mul_f16_e32 v25, 0x2b26, v25
	s_waitcnt lgkmcnt(0)
	v_add_f16_e32 v14, v14, v22
	v_sub_f16_e32 v48, v33, v46
	v_sub_f16_e32 v51, v46, v50
	v_add_f16_e32 v46, v46, v52
	v_mul_f16_e32 v9, 0xb846, v9
	v_add_f16_e32 v8, v3, v8
	v_sub_f16_e32 v21, v21, v24
	v_mul_f16_e32 v3, 0x3b00, v2
	v_sub_f16_e32 v64, v60, v63
	v_mul_f16_e32 v69, 0xb846, v69
	v_add_f16_e32 v63, v63, v68
	v_fma_f16 v23, v23, s11, v25
	v_fma_f16 v22, v22, s12, v14
	v_mul_f16_e32 v51, 0x2b26, v51
	v_add_f16_e32 v20, v20, v46
	v_fma_f16 v11, v10, s13, v9
	v_sub_f16_e32 v53, v68, v60
	v_fma_f16 v24, v21, s4, -v26
	v_sub_f16_e32 v33, v50, v33
	v_fma_f16 v3, v10, s5, -v3
	v_fma_f16 v21, v21, s1, -v25
	;; [unrolled: 1-line block ×3, first 2 shown]
	v_add_f16_e32 v63, v60, v63
	v_add_f16_e32 v23, v23, v22
	v_fma_f16 v46, v46, s12, v20
	v_fma_f16 v11, v8, s10, v11
	v_add_f16_e32 v24, v24, v22
	v_fma_f16 v3, v8, s10, v3
	v_add_f16_e32 v21, v21, v22
	v_fma_f16 v22, v53, s0, -v69
	v_fma_f16 v2, v8, s10, v2
	v_fma_f16 v8, v33, s1, -v51
	v_mul_f16_e32 v49, 0x3a52, v48
	v_fma_f16 v22, v63, s10, v22
	v_add_f16_e32 v8, v8, v46
	v_fma_f16 v49, v33, s4, -v49
	v_sub_f16_e32 v25, v21, v22
	v_add_f16_e32 v33, v2, v8
	v_add_f16_e32 v21, v22, v21
	v_sub_f16_e32 v22, v8, v2
	v_lshrrev_b32_e32 v2, 3, v12
	v_mul_hi_u32 v2, v2, s2
	v_fma_f16 v48, v48, s11, v51
	v_lshrrev_b32_e32 v2, 1, v2
	v_add_f16_e32 v48, v48, v46
	v_mul_lo_u32 v2, v2, s3
	v_sub_f16_e32 v52, v48, v11
	v_add_f16_e32 v49, v49, v46
	v_add_f16_e32 v11, v11, v48
	v_sub_u32_e32 v48, v12, v2
	v_sub_f16_e32 v10, v49, v3
	v_add_f16_e32 v46, v3, v49
	v_mad_u64_u32 v[2:3], s[0:1], s16, v48, 0
	v_mov_b32_e32 v8, v3
	v_mad_u64_u32 v[8:9], s[0:1], s17, v48, v[8:9]
	v_mov_b32_e32 v3, v8
	v_lshl_add_u64 v[2:3], v[2:3], 2, v[4:5]
	v_pack_b32_f16 v6, v20, v14
	v_add_u32_e32 v7, 0xa8, v48
	global_store_dword v[2:3], v6, off
	v_mad_u64_u32 v[2:3], s[0:1], s16, v7, 0
	v_fma_f16 v70, v64, s13, v69
	v_mov_b32_e32 v6, v3
	v_fma_f16 v70, v63, s10, v70
	v_mad_u64_u32 v[6:7], s[0:1], s17, v7, v[6:7]
	v_add_f16_e32 v32, v70, v23
	v_sub_f16_e32 v23, v23, v70
	v_mov_b32_e32 v3, v6
	v_lshl_add_u64 v[2:3], v[2:3], 2, v[4:5]
	v_pack_b32_f16 v6, v11, v23
	v_add_u32_e32 v7, 0x150, v48
	v_mul_f16_e32 v54, 0x3b00, v53
	global_store_dword v[2:3], v6, off
	v_mad_u64_u32 v[2:3], s[0:1], s16, v7, 0
	v_fma_f16 v54, v64, s5, -v54
	v_mov_b32_e32 v6, v3
	v_fma_f16 v54, v63, s10, v54
	v_mad_u64_u32 v[6:7], s[0:1], s17, v7, v[6:7]
	v_add_f16_e32 v26, v54, v24
	v_sub_f16_e32 v24, v24, v54
	v_mov_b32_e32 v3, v6
	v_lshl_add_u64 v[2:3], v[2:3], 2, v[4:5]
	v_pack_b32_f16 v6, v46, v24
	v_add_u32_e32 v7, 0x1f8, v48
	global_store_dword v[2:3], v6, off
	v_mad_u64_u32 v[2:3], s[0:1], s16, v7, 0
	v_mov_b32_e32 v6, v3
	v_mad_u64_u32 v[6:7], s[0:1], s17, v7, v[6:7]
	v_mov_b32_e32 v3, v6
	v_lshl_add_u64 v[2:3], v[2:3], 2, v[4:5]
	v_pack_b32_f16 v6, v22, v21
	v_add_u32_e32 v7, 0x2a0, v48
	global_store_dword v[2:3], v6, off
	v_mad_u64_u32 v[2:3], s[0:1], s16, v7, 0
	v_mov_b32_e32 v6, v3
	v_mad_u64_u32 v[6:7], s[0:1], s17, v7, v[6:7]
	v_mov_b32_e32 v3, v6
	v_lshl_add_u64 v[2:3], v[2:3], 2, v[4:5]
	v_pack_b32_f16 v6, v33, v25
	v_add_u32_e32 v7, 0x348, v48
	global_store_dword v[2:3], v6, off
	v_mad_u64_u32 v[2:3], s[0:1], s16, v7, 0
	v_mov_b32_e32 v6, v3
	v_mad_u64_u32 v[6:7], s[0:1], s17, v7, v[6:7]
	v_mov_b32_e32 v3, v6
	v_lshl_add_u64 v[2:3], v[2:3], 2, v[4:5]
	v_pack_b32_f16 v6, v10, v26
	v_add_u32_e32 v7, 0x3f0, v48
	global_store_dword v[2:3], v6, off
	v_mad_u64_u32 v[2:3], s[0:1], s16, v7, 0
	v_mov_b32_e32 v6, v3
	v_mad_u64_u32 v[6:7], s[0:1], s17, v7, v[6:7]
	v_mov_b32_e32 v3, v6
	v_lshl_add_u64 v[2:3], v[2:3], 2, v[4:5]
	v_pack_b32_f16 v6, v52, v32
	global_store_dword v[2:3], v6, off
	v_add_u32_e32 v2, 56, v12
	v_lshrrev_b32_e32 v3, 3, v2
	v_mul_hi_u32 v3, v3, s2
	v_lshrrev_b32_e32 v3, 1, v3
	v_mul_lo_u32 v6, v3, s3
	v_sub_u32_e32 v2, v2, v6
	s_movk_i32 s4, 0x498
	v_mad_u64_u32 v[2:3], s[0:1], v3, s4, v[2:3]
	v_mad_u64_u32 v[6:7], s[0:1], s16, v2, 0
	v_mov_b32_e32 v8, v7
	v_mad_u64_u32 v[8:9], s[0:1], s17, v2, v[8:9]
	v_mov_b32_e32 v7, v8
	v_lshl_add_u64 v[6:7], v[6:7], 2, v[4:5]
	v_pack_b32_f16 v3, v27, v15
	global_store_dword v[6:7], v3, off
	v_add_u32_e32 v3, 0xa8, v2
	v_mad_u64_u32 v[6:7], s[0:1], s16, v3, 0
	v_mov_b32_e32 v8, v7
	v_mad_u64_u32 v[8:9], s[0:1], s17, v3, v[8:9]
	v_mov_b32_e32 v7, v8
	v_lshl_add_u64 v[6:7], v[6:7], 2, v[4:5]
	v_pack_b32_f16 v3, v31, v30
	global_store_dword v[6:7], v3, off
	v_add_u32_e32 v3, 0x150, v2
	;; [unrolled: 8-line block ×7, first 2 shown]
	v_lshrrev_b32_e32 v3, 3, v2
	v_mul_hi_u32 v3, v3, s2
	v_lshrrev_b32_e32 v3, 1, v3
	v_mul_lo_u32 v6, v3, s3
	v_sub_u32_e32 v2, v2, v6
	v_mad_u64_u32 v[2:3], s[0:1], v3, s4, v[2:3]
	v_mad_u64_u32 v[6:7], s[0:1], s16, v2, 0
	v_mov_b32_e32 v8, v7
	v_mad_u64_u32 v[8:9], s[0:1], s17, v2, v[8:9]
	v_mov_b32_e32 v7, v8
	v_lshl_add_u64 v[6:7], v[6:7], 2, v[4:5]
	v_pack_b32_f16 v3, v34, v44
	global_store_dword v[6:7], v3, off
	v_add_u32_e32 v3, 0xa8, v2
	v_mad_u64_u32 v[6:7], s[0:1], s16, v3, 0
	v_mov_b32_e32 v8, v7
	v_mad_u64_u32 v[8:9], s[0:1], s17, v3, v[8:9]
	v_mov_b32_e32 v7, v8
	v_lshl_add_u64 v[6:7], v[6:7], 2, v[4:5]
	v_pack_b32_f16 v3, v47, v39
	global_store_dword v[6:7], v3, off
	v_add_u32_e32 v3, 0x150, v2
	;; [unrolled: 8-line block ×3, first 2 shown]
	v_mad_u64_u32 v[6:7], s[0:1], s16, v3, 0
	v_mov_b32_e32 v8, v7
	v_mad_u64_u32 v[8:9], s[0:1], s17, v3, v[8:9]
	v_mov_b32_e32 v7, v8
	v_lshl_add_u64 v[6:7], v[6:7], 2, v[4:5]
	global_store_dword v[6:7], v1, off
	v_add_u32_e32 v1, 0x2a0, v2
	v_mad_u64_u32 v[6:7], s[0:1], s16, v1, 0
	v_mov_b32_e32 v8, v7
	v_mad_u64_u32 v[8:9], s[0:1], s17, v1, v[8:9]
	v_mov_b32_e32 v7, v8
	v_lshl_add_u64 v[6:7], v[6:7], 2, v[4:5]
	v_pack_b32_f16 v1, v13, v38
	global_store_dword v[6:7], v1, off
	v_add_u32_e32 v1, 0x348, v2
	v_mad_u64_u32 v[6:7], s[0:1], s16, v1, 0
	v_mov_b32_e32 v8, v7
	v_mad_u64_u32 v[8:9], s[0:1], s17, v1, v[8:9]
	v_mov_b32_e32 v7, v8
	v_lshl_add_u64 v[6:7], v[6:7], 2, v[4:5]
	v_pack_b32_f16 v1, v41, v40
	global_store_dword v[6:7], v1, off
	v_add_u32_e32 v1, 0x3f0, v2
	v_mad_u64_u32 v[2:3], s[0:1], s16, v1, 0
	v_mov_b32_e32 v6, v3
	v_mad_u64_u32 v[6:7], s[0:1], s17, v1, v[6:7]
	v_mov_b32_e32 v3, v6
	v_lshl_add_u64 v[2:3], v[2:3], 2, v[4:5]
	global_store_dword v[2:3], v0, off
.LBB0_37:
	s_endpgm
	.section	.rodata,"a",@progbits
	.p2align	6, 0x0
	.amdhsa_kernel fft_rtc_fwd_len1176_factors_2_2_2_3_7_7_wgs_56_tpt_56_halfLds_half_op_CI_CI_sbrr_dirReg
		.amdhsa_group_segment_fixed_size 0
		.amdhsa_private_segment_fixed_size 0
		.amdhsa_kernarg_size 104
		.amdhsa_user_sgpr_count 2
		.amdhsa_user_sgpr_dispatch_ptr 0
		.amdhsa_user_sgpr_queue_ptr 0
		.amdhsa_user_sgpr_kernarg_segment_ptr 1
		.amdhsa_user_sgpr_dispatch_id 0
		.amdhsa_user_sgpr_kernarg_preload_length 0
		.amdhsa_user_sgpr_kernarg_preload_offset 0
		.amdhsa_user_sgpr_private_segment_size 0
		.amdhsa_uses_dynamic_stack 0
		.amdhsa_enable_private_segment 0
		.amdhsa_system_sgpr_workgroup_id_x 1
		.amdhsa_system_sgpr_workgroup_id_y 0
		.amdhsa_system_sgpr_workgroup_id_z 0
		.amdhsa_system_sgpr_workgroup_info 0
		.amdhsa_system_vgpr_workitem_id 0
		.amdhsa_next_free_vgpr 100
		.amdhsa_next_free_sgpr 32
		.amdhsa_accum_offset 100
		.amdhsa_reserve_vcc 1
		.amdhsa_float_round_mode_32 0
		.amdhsa_float_round_mode_16_64 0
		.amdhsa_float_denorm_mode_32 3
		.amdhsa_float_denorm_mode_16_64 3
		.amdhsa_dx10_clamp 1
		.amdhsa_ieee_mode 1
		.amdhsa_fp16_overflow 0
		.amdhsa_tg_split 0
		.amdhsa_exception_fp_ieee_invalid_op 0
		.amdhsa_exception_fp_denorm_src 0
		.amdhsa_exception_fp_ieee_div_zero 0
		.amdhsa_exception_fp_ieee_overflow 0
		.amdhsa_exception_fp_ieee_underflow 0
		.amdhsa_exception_fp_ieee_inexact 0
		.amdhsa_exception_int_div_zero 0
	.end_amdhsa_kernel
	.text
.Lfunc_end0:
	.size	fft_rtc_fwd_len1176_factors_2_2_2_3_7_7_wgs_56_tpt_56_halfLds_half_op_CI_CI_sbrr_dirReg, .Lfunc_end0-fft_rtc_fwd_len1176_factors_2_2_2_3_7_7_wgs_56_tpt_56_halfLds_half_op_CI_CI_sbrr_dirReg
                                        ; -- End function
	.section	.AMDGPU.csdata,"",@progbits
; Kernel info:
; codeLenInByte = 15288
; NumSgprs: 38
; NumVgprs: 100
; NumAgprs: 0
; TotalNumVgprs: 100
; ScratchSize: 0
; MemoryBound: 0
; FloatMode: 240
; IeeeMode: 1
; LDSByteSize: 0 bytes/workgroup (compile time only)
; SGPRBlocks: 4
; VGPRBlocks: 12
; NumSGPRsForWavesPerEU: 38
; NumVGPRsForWavesPerEU: 100
; AccumOffset: 100
; Occupancy: 4
; WaveLimiterHint : 1
; COMPUTE_PGM_RSRC2:SCRATCH_EN: 0
; COMPUTE_PGM_RSRC2:USER_SGPR: 2
; COMPUTE_PGM_RSRC2:TRAP_HANDLER: 0
; COMPUTE_PGM_RSRC2:TGID_X_EN: 1
; COMPUTE_PGM_RSRC2:TGID_Y_EN: 0
; COMPUTE_PGM_RSRC2:TGID_Z_EN: 0
; COMPUTE_PGM_RSRC2:TIDIG_COMP_CNT: 0
; COMPUTE_PGM_RSRC3_GFX90A:ACCUM_OFFSET: 24
; COMPUTE_PGM_RSRC3_GFX90A:TG_SPLIT: 0
	.text
	.p2alignl 6, 3212836864
	.fill 256, 4, 3212836864
	.type	__hip_cuid_35bec7ef64cb6098,@object ; @__hip_cuid_35bec7ef64cb6098
	.section	.bss,"aw",@nobits
	.globl	__hip_cuid_35bec7ef64cb6098
__hip_cuid_35bec7ef64cb6098:
	.byte	0                               ; 0x0
	.size	__hip_cuid_35bec7ef64cb6098, 1

	.ident	"AMD clang version 19.0.0git (https://github.com/RadeonOpenCompute/llvm-project roc-6.4.0 25133 c7fe45cf4b819c5991fe208aaa96edf142730f1d)"
	.section	".note.GNU-stack","",@progbits
	.addrsig
	.addrsig_sym __hip_cuid_35bec7ef64cb6098
	.amdgpu_metadata
---
amdhsa.kernels:
  - .agpr_count:     0
    .args:
      - .actual_access:  read_only
        .address_space:  global
        .offset:         0
        .size:           8
        .value_kind:     global_buffer
      - .offset:         8
        .size:           8
        .value_kind:     by_value
      - .actual_access:  read_only
        .address_space:  global
        .offset:         16
        .size:           8
        .value_kind:     global_buffer
      - .actual_access:  read_only
        .address_space:  global
        .offset:         24
        .size:           8
        .value_kind:     global_buffer
      - .actual_access:  read_only
        .address_space:  global
        .offset:         32
        .size:           8
        .value_kind:     global_buffer
      - .offset:         40
        .size:           8
        .value_kind:     by_value
      - .actual_access:  read_only
        .address_space:  global
        .offset:         48
        .size:           8
        .value_kind:     global_buffer
      - .actual_access:  read_only
        .address_space:  global
        .offset:         56
        .size:           8
        .value_kind:     global_buffer
      - .offset:         64
        .size:           4
        .value_kind:     by_value
      - .actual_access:  read_only
        .address_space:  global
        .offset:         72
        .size:           8
        .value_kind:     global_buffer
      - .actual_access:  read_only
        .address_space:  global
        .offset:         80
        .size:           8
        .value_kind:     global_buffer
      - .actual_access:  read_only
        .address_space:  global
        .offset:         88
        .size:           8
        .value_kind:     global_buffer
      - .actual_access:  write_only
        .address_space:  global
        .offset:         96
        .size:           8
        .value_kind:     global_buffer
    .group_segment_fixed_size: 0
    .kernarg_segment_align: 8
    .kernarg_segment_size: 104
    .language:       OpenCL C
    .language_version:
      - 2
      - 0
    .max_flat_workgroup_size: 56
    .name:           fft_rtc_fwd_len1176_factors_2_2_2_3_7_7_wgs_56_tpt_56_halfLds_half_op_CI_CI_sbrr_dirReg
    .private_segment_fixed_size: 0
    .sgpr_count:     38
    .sgpr_spill_count: 0
    .symbol:         fft_rtc_fwd_len1176_factors_2_2_2_3_7_7_wgs_56_tpt_56_halfLds_half_op_CI_CI_sbrr_dirReg.kd
    .uniform_work_group_size: 1
    .uses_dynamic_stack: false
    .vgpr_count:     100
    .vgpr_spill_count: 0
    .wavefront_size: 64
amdhsa.target:   amdgcn-amd-amdhsa--gfx950
amdhsa.version:
  - 1
  - 2
...

	.end_amdgpu_metadata
